;; amdgpu-corpus repo=ROCm/rocFFT kind=compiled arch=gfx950 opt=O3
	.text
	.amdgcn_target "amdgcn-amd-amdhsa--gfx950"
	.amdhsa_code_object_version 6
	.protected	fft_rtc_fwd_len1014_factors_13_6_13_wgs_156_tpt_78_sp_ip_CI_sbrr_dirReg ; -- Begin function fft_rtc_fwd_len1014_factors_13_6_13_wgs_156_tpt_78_sp_ip_CI_sbrr_dirReg
	.globl	fft_rtc_fwd_len1014_factors_13_6_13_wgs_156_tpt_78_sp_ip_CI_sbrr_dirReg
	.p2align	8
	.type	fft_rtc_fwd_len1014_factors_13_6_13_wgs_156_tpt_78_sp_ip_CI_sbrr_dirReg,@function
fft_rtc_fwd_len1014_factors_13_6_13_wgs_156_tpt_78_sp_ip_CI_sbrr_dirReg: ; @fft_rtc_fwd_len1014_factors_13_6_13_wgs_156_tpt_78_sp_ip_CI_sbrr_dirReg
; %bb.0:
	s_load_dwordx2 s[12:13], s[0:1], 0x18
	s_load_dwordx4 s[4:7], s[0:1], 0x0
	s_load_dwordx2 s[10:11], s[0:1], 0x50
	v_mul_u32_u24_e32 v1, 0x349, v0
	v_lshrrev_b32_e32 v30, 16, v1
	s_waitcnt lgkmcnt(0)
	s_load_dwordx2 s[8:9], s[12:13], 0x0
	v_lshl_add_u32 v6, s2, 1, v30
	v_mov_b32_e32 v4, 0
	v_cmp_lt_u64_e64 s[2:3], s[6:7], 2
	v_mov_b32_e32 v7, v4
	s_and_b64 vcc, exec, s[2:3]
	v_mov_b64_e32 v[2:3], 0
	s_cbranch_vccnz .LBB0_8
; %bb.1:
	s_load_dwordx2 s[2:3], s[0:1], 0x10
	s_add_u32 s14, s12, 8
	s_addc_u32 s15, s13, 0
	s_mov_b64 s[16:17], 1
	v_mov_b64_e32 v[2:3], 0
	s_waitcnt lgkmcnt(0)
	s_add_u32 s18, s2, 8
	s_addc_u32 s19, s3, 0
.LBB0_2:                                ; =>This Inner Loop Header: Depth=1
	s_load_dwordx2 s[20:21], s[18:19], 0x0
                                        ; implicit-def: $vgpr8_vgpr9
	s_waitcnt lgkmcnt(0)
	v_or_b32_e32 v5, s21, v7
	v_cmp_ne_u64_e32 vcc, 0, v[4:5]
	s_and_saveexec_b64 s[2:3], vcc
	s_xor_b64 s[22:23], exec, s[2:3]
	s_cbranch_execz .LBB0_4
; %bb.3:                                ;   in Loop: Header=BB0_2 Depth=1
	v_cvt_f32_u32_e32 v1, s20
	v_cvt_f32_u32_e32 v5, s21
	s_sub_u32 s2, 0, s20
	s_subb_u32 s3, 0, s21
	v_fmac_f32_e32 v1, 0x4f800000, v5
	v_rcp_f32_e32 v1, v1
	s_nop 0
	v_mul_f32_e32 v1, 0x5f7ffffc, v1
	v_mul_f32_e32 v5, 0x2f800000, v1
	v_trunc_f32_e32 v5, v5
	v_fmac_f32_e32 v1, 0xcf800000, v5
	v_cvt_u32_f32_e32 v5, v5
	v_cvt_u32_f32_e32 v1, v1
	v_mul_lo_u32 v8, s2, v5
	v_mul_hi_u32 v10, s2, v1
	v_mul_lo_u32 v9, s3, v1
	v_add_u32_e32 v10, v10, v8
	v_mul_lo_u32 v12, s2, v1
	v_add_u32_e32 v13, v10, v9
	v_mul_hi_u32 v8, v1, v12
	v_mul_hi_u32 v11, v1, v13
	v_mul_lo_u32 v10, v1, v13
	v_mov_b32_e32 v9, v4
	v_lshl_add_u64 v[8:9], v[8:9], 0, v[10:11]
	v_mul_hi_u32 v11, v5, v12
	v_mul_lo_u32 v12, v5, v12
	v_add_co_u32_e32 v8, vcc, v8, v12
	v_mul_hi_u32 v10, v5, v13
	s_nop 0
	v_addc_co_u32_e32 v8, vcc, v9, v11, vcc
	v_mov_b32_e32 v9, v4
	s_nop 0
	v_addc_co_u32_e32 v11, vcc, 0, v10, vcc
	v_mul_lo_u32 v10, v5, v13
	v_lshl_add_u64 v[8:9], v[8:9], 0, v[10:11]
	v_add_co_u32_e32 v1, vcc, v1, v8
	v_mul_lo_u32 v10, s2, v1
	s_nop 0
	v_addc_co_u32_e32 v5, vcc, v5, v9, vcc
	v_mul_lo_u32 v8, s2, v5
	v_mul_hi_u32 v9, s2, v1
	v_add_u32_e32 v8, v9, v8
	v_mul_lo_u32 v9, s3, v1
	v_add_u32_e32 v12, v8, v9
	v_mul_hi_u32 v14, v5, v10
	v_mul_lo_u32 v15, v5, v10
	v_mul_hi_u32 v9, v1, v12
	v_mul_lo_u32 v8, v1, v12
	v_mul_hi_u32 v10, v1, v10
	v_mov_b32_e32 v11, v4
	v_lshl_add_u64 v[8:9], v[10:11], 0, v[8:9]
	v_add_co_u32_e32 v8, vcc, v8, v15
	v_mul_hi_u32 v13, v5, v12
	s_nop 0
	v_addc_co_u32_e32 v8, vcc, v9, v14, vcc
	v_mul_lo_u32 v10, v5, v12
	s_nop 0
	v_addc_co_u32_e32 v11, vcc, 0, v13, vcc
	v_mov_b32_e32 v9, v4
	v_lshl_add_u64 v[8:9], v[8:9], 0, v[10:11]
	v_add_co_u32_e32 v1, vcc, v1, v8
	v_mul_hi_u32 v10, v6, v1
	s_nop 0
	v_addc_co_u32_e32 v5, vcc, v5, v9, vcc
	v_mad_u64_u32 v[8:9], s[2:3], v6, v5, 0
	v_mov_b32_e32 v11, v4
	v_lshl_add_u64 v[8:9], v[10:11], 0, v[8:9]
	v_mad_u64_u32 v[12:13], s[2:3], v7, v1, 0
	v_add_co_u32_e32 v1, vcc, v8, v12
	v_mad_u64_u32 v[10:11], s[2:3], v7, v5, 0
	s_nop 0
	v_addc_co_u32_e32 v8, vcc, v9, v13, vcc
	v_mov_b32_e32 v9, v4
	s_nop 0
	v_addc_co_u32_e32 v11, vcc, 0, v11, vcc
	v_lshl_add_u64 v[8:9], v[8:9], 0, v[10:11]
	v_mul_lo_u32 v1, s21, v8
	v_mul_lo_u32 v5, s20, v9
	v_mad_u64_u32 v[10:11], s[2:3], s20, v8, 0
	v_add3_u32 v1, v11, v5, v1
	v_sub_u32_e32 v5, v7, v1
	v_mov_b32_e32 v11, s21
	v_sub_co_u32_e32 v14, vcc, v6, v10
	v_lshl_add_u64 v[12:13], v[8:9], 0, 1
	s_nop 0
	v_subb_co_u32_e64 v5, s[2:3], v5, v11, vcc
	v_subrev_co_u32_e64 v10, s[2:3], s20, v14
	v_subb_co_u32_e32 v1, vcc, v7, v1, vcc
	s_nop 0
	v_subbrev_co_u32_e64 v5, s[2:3], 0, v5, s[2:3]
	v_cmp_le_u32_e64 s[2:3], s21, v5
	v_cmp_le_u32_e32 vcc, s21, v1
	s_nop 0
	v_cndmask_b32_e64 v11, 0, -1, s[2:3]
	v_cmp_le_u32_e64 s[2:3], s20, v10
	s_nop 1
	v_cndmask_b32_e64 v10, 0, -1, s[2:3]
	v_cmp_eq_u32_e64 s[2:3], s21, v5
	s_nop 1
	v_cndmask_b32_e64 v5, v11, v10, s[2:3]
	v_lshl_add_u64 v[10:11], v[8:9], 0, 2
	v_cmp_ne_u32_e64 s[2:3], 0, v5
	s_nop 1
	v_cndmask_b32_e64 v5, v13, v11, s[2:3]
	v_cndmask_b32_e64 v11, 0, -1, vcc
	v_cmp_le_u32_e32 vcc, s20, v14
	s_nop 1
	v_cndmask_b32_e64 v13, 0, -1, vcc
	v_cmp_eq_u32_e32 vcc, s21, v1
	s_nop 1
	v_cndmask_b32_e32 v1, v11, v13, vcc
	v_cmp_ne_u32_e32 vcc, 0, v1
	v_cndmask_b32_e64 v1, v12, v10, s[2:3]
	s_nop 0
	v_cndmask_b32_e32 v9, v9, v5, vcc
	v_cndmask_b32_e32 v8, v8, v1, vcc
.LBB0_4:                                ;   in Loop: Header=BB0_2 Depth=1
	s_andn2_saveexec_b64 s[2:3], s[22:23]
	s_cbranch_execz .LBB0_6
; %bb.5:                                ;   in Loop: Header=BB0_2 Depth=1
	v_cvt_f32_u32_e32 v1, s20
	s_sub_i32 s22, 0, s20
	v_rcp_iflag_f32_e32 v1, v1
	s_nop 0
	v_mul_f32_e32 v1, 0x4f7ffffe, v1
	v_cvt_u32_f32_e32 v1, v1
	v_mul_lo_u32 v5, s22, v1
	v_mul_hi_u32 v5, v1, v5
	v_add_u32_e32 v1, v1, v5
	v_mul_hi_u32 v1, v6, v1
	v_mul_lo_u32 v5, v1, s20
	v_sub_u32_e32 v5, v6, v5
	v_add_u32_e32 v8, 1, v1
	v_subrev_u32_e32 v9, s20, v5
	v_cmp_le_u32_e32 vcc, s20, v5
	s_nop 1
	v_cndmask_b32_e32 v5, v5, v9, vcc
	v_cndmask_b32_e32 v1, v1, v8, vcc
	v_add_u32_e32 v8, 1, v1
	v_cmp_le_u32_e32 vcc, s20, v5
	v_mov_b32_e32 v9, v4
	s_nop 0
	v_cndmask_b32_e32 v8, v1, v8, vcc
.LBB0_6:                                ;   in Loop: Header=BB0_2 Depth=1
	s_or_b64 exec, exec, s[2:3]
	v_mad_u64_u32 v[10:11], s[2:3], v8, s20, 0
	s_load_dwordx2 s[2:3], s[14:15], 0x0
	v_mul_lo_u32 v1, v9, s20
	v_mul_lo_u32 v5, v8, s21
	v_add3_u32 v1, v11, v5, v1
	v_sub_co_u32_e32 v5, vcc, v6, v10
	s_add_u32 s16, s16, 1
	s_nop 0
	v_subb_co_u32_e32 v1, vcc, v7, v1, vcc
	s_addc_u32 s17, s17, 0
	s_waitcnt lgkmcnt(0)
	v_mul_lo_u32 v1, s2, v1
	v_mul_lo_u32 v6, s3, v5
	v_mad_u64_u32 v[2:3], s[2:3], s2, v5, v[2:3]
	s_add_u32 s14, s14, 8
	v_add3_u32 v3, v6, v3, v1
	s_addc_u32 s15, s15, 0
	v_mov_b64_e32 v[6:7], s[6:7]
	s_add_u32 s18, s18, 8
	v_cmp_ge_u64_e32 vcc, s[16:17], v[6:7]
	s_addc_u32 s19, s19, 0
	s_cbranch_vccnz .LBB0_9
; %bb.7:                                ;   in Loop: Header=BB0_2 Depth=1
	v_mov_b64_e32 v[6:7], v[8:9]
	s_branch .LBB0_2
.LBB0_8:
	v_mov_b64_e32 v[8:9], v[6:7]
.LBB0_9:
	s_lshl_b64 s[2:3], s[6:7], 3
	s_add_u32 s2, s12, s2
	s_addc_u32 s3, s13, s3
	s_load_dwordx2 s[6:7], s[2:3], 0x0
	s_load_dwordx2 s[12:13], s[0:1], 0x20
	s_mov_b32 s2, 0x3483484
                                        ; implicit-def: $sgpr3
                                        ; implicit-def: $vgpr135
                                        ; implicit-def: $vgpr134
	s_waitcnt lgkmcnt(0)
	v_mul_lo_u32 v1, s6, v9
	v_mul_lo_u32 v4, s7, v8
	v_mad_u64_u32 v[2:3], s[0:1], s6, v8, v[2:3]
	v_add3_u32 v3, v4, v3, v1
	v_mul_hi_u32 v1, v0, s2
	v_mul_u32_u24_e32 v1, 0x4e, v1
	v_cmp_gt_u64_e32 vcc, s[12:13], v[8:9]
	v_cmp_le_u64_e64 s[0:1], s[12:13], v[8:9]
	v_sub_u32_e32 v132, v0, v1
                                        ; implicit-def: $sgpr2
	s_and_saveexec_b64 s[6:7], s[0:1]
	s_xor_b64 s[0:1], exec, s[6:7]
; %bb.10:
	v_add_u32_e32 v135, 0x4e, v132
	v_add_u32_e32 v134, 0x9c, v132
	s_mov_b32 s3, 0
	s_mov_b32 s2, 0
; %bb.11:
	s_or_saveexec_b64 s[0:1], s[0:1]
	v_mov_b32_e32 v133, s3
	v_mov_b32_e32 v0, s2
	v_lshl_add_u64 v[28:29], v[2:3], 3, s[10:11]
	v_mov_b32_e32 v1, s2
                                        ; implicit-def: $vgpr18
                                        ; implicit-def: $vgpr16
                                        ; implicit-def: $vgpr14
                                        ; implicit-def: $vgpr20
                                        ; implicit-def: $vgpr22
                                        ; implicit-def: $vgpr24
                                        ; implicit-def: $vgpr26
                                        ; implicit-def: $vgpr32
                                        ; implicit-def: $vgpr34
                                        ; implicit-def: $vgpr12
                                        ; implicit-def: $vgpr10
                                        ; implicit-def: $vgpr8
	s_xor_b64 exec, exec, s[0:1]
	s_cbranch_execz .LBB0_13
; %bb.12:
	v_mad_u64_u32 v[0:1], s[2:3], s8, v132, 0
	v_mov_b32_e32 v2, v1
	v_mad_u64_u32 v[2:3], s[2:3], s9, v132, v[2:3]
	v_mov_b32_e32 v1, v2
	v_add_u32_e32 v135, 0x4e, v132
	v_lshl_add_u64 v[2:3], v[0:1], 3, v[28:29]
	v_mad_u64_u32 v[0:1], s[2:3], s8, v135, 0
	v_mov_b32_e32 v4, v1
	v_mad_u64_u32 v[4:5], s[2:3], s9, v135, v[4:5]
	v_mov_b32_e32 v1, v4
	v_add_u32_e32 v134, 0x9c, v132
	v_lshl_add_u64 v[4:5], v[0:1], 3, v[28:29]
	;; [unrolled: 6-line block ×3, first 2 shown]
	v_mad_u64_u32 v[0:1], s[2:3], s8, v9, 0
	v_mov_b32_e32 v8, v1
	v_mad_u64_u32 v[8:9], s[2:3], s9, v9, v[8:9]
	v_mov_b32_e32 v1, v8
	v_lshl_add_u64 v[14:15], v[0:1], 3, v[28:29]
	global_load_dwordx2 v[0:1], v[2:3], off
	global_load_dwordx2 v[10:11], v[4:5], off
	;; [unrolled: 1-line block ×4, first 2 shown]
	v_add_u32_e32 v5, 0x138, v132
	v_mad_u64_u32 v[2:3], s[2:3], s8, v5, 0
	v_mov_b32_e32 v4, v3
	v_mad_u64_u32 v[4:5], s[2:3], s9, v5, v[4:5]
	v_add_u32_e32 v7, 0x186, v132
	v_mov_b32_e32 v3, v4
	v_mad_u64_u32 v[4:5], s[2:3], s8, v7, 0
	v_mov_b32_e32 v6, v5
	v_mad_u64_u32 v[6:7], s[2:3], s9, v7, v[6:7]
	v_add_u32_e32 v15, 0x1d4, v132
	v_mov_b32_e32 v5, v6
	;; [unrolled: 5-line block ×3, first 2 shown]
	v_mad_u64_u32 v[14:15], s[2:3], s8, v17, 0
	v_mov_b32_e32 v16, v15
	v_mad_u64_u32 v[16:17], s[2:3], s9, v17, v[16:17]
	v_mov_b32_e32 v15, v16
	v_add_u32_e32 v17, 0x270, v132
	v_lshl_add_u64 v[36:37], v[14:15], 3, v[28:29]
	v_mad_u64_u32 v[14:15], s[2:3], s8, v17, 0
	v_mov_b32_e32 v16, v15
	v_mad_u64_u32 v[16:17], s[2:3], s9, v17, v[16:17]
	v_mov_b32_e32 v15, v16
	v_add_u32_e32 v17, 0x2be, v132
	v_lshl_add_u64 v[38:39], v[14:15], 3, v[28:29]
	v_mad_u64_u32 v[14:15], s[2:3], s8, v17, 0
	v_mov_b32_e32 v16, v15
	v_mad_u64_u32 v[16:17], s[2:3], s9, v17, v[16:17]
	v_mov_b32_e32 v15, v16
	v_add_u32_e32 v17, 0x30c, v132
	v_lshl_add_u64 v[40:41], v[14:15], 3, v[28:29]
	v_mad_u64_u32 v[14:15], s[2:3], s8, v17, 0
	v_mov_b32_e32 v16, v15
	v_mad_u64_u32 v[16:17], s[2:3], s9, v17, v[16:17]
	v_mov_b32_e32 v15, v16
	v_add_u32_e32 v17, 0x35a, v132
	v_lshl_add_u64 v[42:43], v[14:15], 3, v[28:29]
	v_mad_u64_u32 v[14:15], s[2:3], s8, v17, 0
	v_mov_b32_e32 v16, v15
	v_mad_u64_u32 v[16:17], s[2:3], s9, v17, v[16:17]
	v_mov_b32_e32 v15, v16
	v_add_u32_e32 v17, 0x3a8, v132
	v_lshl_add_u64 v[44:45], v[14:15], 3, v[28:29]
	v_mad_u64_u32 v[14:15], s[2:3], s8, v17, 0
	v_mov_b32_e32 v16, v15
	v_mad_u64_u32 v[16:17], s[2:3], s9, v17, v[16:17]
	v_lshl_add_u64 v[2:3], v[2:3], 3, v[28:29]
	v_mov_b32_e32 v15, v16
	v_lshl_add_u64 v[4:5], v[4:5], 3, v[28:29]
	v_lshl_add_u64 v[6:7], v[6:7], 3, v[28:29]
	;; [unrolled: 1-line block ×3, first 2 shown]
	global_load_dwordx2 v[34:35], v[2:3], off
	global_load_dwordx2 v[32:33], v[4:5], off
	;; [unrolled: 1-line block ×9, first 2 shown]
	v_mov_b32_e32 v133, v132
.LBB0_13:
	s_or_b64 exec, exec, s[0:1]
	s_waitcnt vmcnt(11)
	v_pk_add_f32 v[48:49], v[10:11], v[0:1]
	v_and_b32_e32 v2, 1, v30
	s_waitcnt vmcnt(10)
	v_pk_add_f32 v[48:49], v[8:9], v[48:49]
	v_cmp_eq_u32_e64 s[0:1], 1, v2
	v_mov_b32_e32 v2, 0x3f6
	s_waitcnt vmcnt(9)
	v_pk_add_f32 v[48:49], v[12:13], v[48:49]
	v_cndmask_b32_e64 v136, 0, v2, s[0:1]
	s_waitcnt vmcnt(3)
	v_pk_add_f32 v[36:37], v[34:35], v[20:21] neg_lo:[0,1] neg_hi:[0,1]
	v_pk_add_f32 v[2:3], v[34:35], v[20:21]
	v_pk_add_f32 v[34:35], v[34:35], v[48:49]
	v_pk_add_f32 v[38:39], v[32:33], v[22:23] neg_lo:[0,1] neg_hi:[0,1]
	v_pk_add_f32 v[4:5], v[32:33], v[22:23]
	v_pk_add_f32 v[32:33], v[32:33], v[34:35]
	;; [unrolled: 3-line block ×3, first 2 shown]
	s_mov_b32 s16, 0xbe750f2a
	v_pk_add_f32 v[24:25], v[24:25], v[26:27]
	v_mov_b32_e32 v46, v6
	v_pk_add_f32 v[22:23], v[22:23], v[24:25]
	v_mov_b32_e32 v6, v43
	s_mov_b32 s2, 0xbf6f5d39
	s_mov_b32 s17, 0xbf788fa5
	v_lshl_add_u32 v137, v136, 3, 0
	s_movk_i32 s10, 0x68
	v_pk_add_f32 v[20:21], v[20:21], v[22:23]
	v_mov_b32_e32 v40, v2
	v_mov_b32_e32 v2, v37
	;; [unrolled: 1-line block ×3, first 2 shown]
	s_mov_b32 s3, 0xbeb58ec6
	s_mov_b32 s0, 0xbf29c268
	v_pk_mul_f32 v[66:67], v[6:7], s[16:17]
	s_mov_b32 s6, s17
	s_mov_b32 s7, s16
	v_mad_u32_u24 v138, v132, s10, v137
	s_waitcnt vmcnt(2)
	v_pk_add_f32 v[20:21], v[14:15], v[20:21]
	s_waitcnt vmcnt(0)
	v_pk_add_f32 v[50:51], v[10:11], v[18:19] neg_lo:[0,1] neg_hi:[0,1]
	s_mov_b32 s10, 0xbeedf032
	v_mov_b32_e32 v41, v36
	v_mov_b32_e32 v44, v4
	;; [unrolled: 1-line block ×3, first 2 shown]
	v_pk_mul_f32 v[52:53], v[2:3], s[2:3]
	s_mov_b32 s22, s3
	s_mov_b32 s23, s2
	s_mov_b32 s1, 0xbf3f9e67
	v_pk_fma_f32 v[68:69], v[46:47], s[6:7], v[66:67]
	v_pk_fma_f32 v[30:31], v[46:47], s[6:7], v[66:67] neg_lo:[1,0,0] neg_hi:[1,0,0]
	v_pk_add_f32 v[20:21], v[16:17], v[20:21]
	v_pk_add_f32 v[48:49], v[10:11], v[18:19]
	s_mov_b32 s20, 0x3f62ad3f
	v_pk_mul_f32 v[10:11], v[50:51], s[10:11] op_sel_hi:[1,0]
	v_pk_fma_f32 v[66:67], v[46:47], s[6:7], v[66:67] neg_lo:[0,0,1] neg_hi:[0,0,1]
	s_mov_b32 s6, 0x3f29c268
	v_mov_b32_e32 v45, v38
	v_pk_fma_f32 v[54:55], v[40:41], s[22:23], v[52:53]
	v_pk_fma_f32 v[62:63], v[40:41], s[22:23], v[52:53] neg_lo:[1,0,0] neg_hi:[1,0,0]
	v_pk_mul_f32 v[56:57], v[4:5], s[0:1]
	s_mov_b32 s30, s1
	s_mov_b32 s31, s0
	v_pk_add_f32 v[64:65], v[18:19], v[20:21]
	v_pk_fma_f32 v[18:19], v[48:49], s[20:21], v[10:11] op_sel:[0,0,1] op_sel_hi:[1,0,0] neg_lo:[0,0,1] neg_hi:[0,0,1]
	v_pk_fma_f32 v[10:11], v[48:49], s[20:21], v[10:11] op_sel:[0,0,1] op_sel_hi:[1,0,0]
	v_pk_fma_f32 v[74:75], v[40:41], s[22:23], v[52:53] neg_lo:[0,0,1] neg_hi:[0,0,1]
	s_mov_b32 s10, s1
	s_mov_b32 s11, s6
	;; [unrolled: 1-line block ×3, first 2 shown]
	v_mov_b32_e32 v62, v54
	v_pk_fma_f32 v[58:59], v[44:45], s[30:31], v[56:57]
	v_pk_fma_f32 v[60:61], v[44:45], s[30:31], v[56:57] neg_lo:[1,0,0] neg_hi:[1,0,0]
	v_mov_b32_e32 v20, v18
	v_mov_b32_e32 v21, v11
	v_mov_b32_e32 v11, v19
	v_mov_b32_e32 v75, v55
	v_pk_fma_f32 v[76:77], v[44:45], s[30:31], v[56:57] neg_lo:[0,0,1] neg_hi:[0,0,1]
	v_pk_add_f32 v[52:53], v[8:9], v[16:17]
	v_pk_add_f32 v[54:55], v[8:9], v[16:17] neg_lo:[0,1] neg_hi:[0,1]
	v_pk_mul_f32 v[18:19], v[40:41], s[10:11]
	s_mov_b32 s10, 0x3f7e222b
	s_mov_b32 s13, 0x3f116cb1
	v_mov_b32_e32 v60, v58
	v_mov_b32_e32 v77, v59
	v_pk_add_f32 v[56:57], v[12:13], v[14:15]
	v_pk_add_f32 v[58:59], v[12:13], v[14:15] neg_lo:[0,1] neg_hi:[0,1]
	s_mov_b32 s11, 0x3df6dbef
	v_mov_b32_e32 v24, v55
	v_mov_b32_e32 v25, v53
	s_mov_b32 s28, s13
	v_pk_mul_f32 v[34:35], v[50:51], s[12:13] op_sel_hi:[1,0]
	s_mov_b32 s36, s3
	v_pk_mul_f32 v[8:9], v[54:55], s[2:3] op_sel_hi:[1,0]
	v_pk_mul_f32 v[84:85], v[24:25], s[12:13]
	v_mov_b32_e32 v86, v52
	v_mov_b32_e32 v87, v54
	s_mov_b32 s38, s13
	s_mov_b32 s39, s12
	v_mov_b32_e32 v24, v59
	v_mov_b32_e32 v25, v57
	s_mov_b32 s18, 0xbf7e222b
	s_mov_b32 s19, s11
	v_pk_fma_f32 v[32:33], v[48:49], s[28:29], v[34:35] op_sel:[0,0,1] op_sel_hi:[1,0,0] neg_lo:[0,0,1] neg_hi:[0,0,1]
	v_pk_fma_f32 v[34:35], v[48:49], s[28:29], v[34:35] op_sel:[0,0,1] op_sel_hi:[1,0,0]
	v_pk_add_f32 v[72:73], v[10:11], v[0:1]
	v_pk_fma_f32 v[10:11], v[52:53], s[36:37], v[8:9] op_sel:[0,0,1] op_sel_hi:[1,0,0] neg_lo:[0,0,1] neg_hi:[0,0,1]
	v_pk_fma_f32 v[8:9], v[52:53], s[36:37], v[8:9] op_sel:[0,0,1] op_sel_hi:[1,0,0]
	s_mov_b32 s24, s17
	v_pk_mul_f32 v[12:13], v[58:59], s[16:17] op_sel_hi:[1,0]
	v_pk_fma_f32 v[88:89], v[86:87], s[38:39], v[84:85]
	v_pk_fma_f32 v[90:91], v[86:87], s[38:39], v[84:85] neg_lo:[1,0,0] neg_hi:[1,0,0]
	v_pk_mul_f32 v[92:93], v[24:25], s[18:19]
	v_mov_b32_e32 v94, v56
	v_mov_b32_e32 v95, v58
	s_mov_b32 s34, s11
	s_mov_b32 s35, s18
	v_mov_b32_e32 v102, v32
	v_mov_b32_e32 v103, v35
	v_pk_fma_f32 v[84:85], v[86:87], s[38:39], v[84:85] neg_lo:[0,0,1] neg_hi:[0,0,1]
	v_mov_b32_e32 v30, v68
	v_pk_add_f32 v[70:71], v[20:21], v[0:1]
	v_mov_b32_e32 v67, v69
	v_mov_b32_e32 v68, v10
	;; [unrolled: 1-line block ×3, first 2 shown]
	v_pk_fma_f32 v[16:17], v[56:57], s[24:25], v[12:13] op_sel:[0,0,1] op_sel_hi:[1,0,0] neg_lo:[0,0,1] neg_hi:[0,0,1]
	v_pk_fma_f32 v[12:13], v[56:57], s[24:25], v[12:13] op_sel:[0,0,1] op_sel_hi:[1,0,0]
	s_mov_b32 s7, s1
	s_mov_b32 s26, s11
	;; [unrolled: 1-line block ×3, first 2 shown]
	v_mov_b32_e32 v90, v88
	v_pk_fma_f32 v[96:97], v[94:95], s[34:35], v[92:93]
	v_pk_fma_f32 v[98:99], v[94:95], s[34:35], v[92:93] neg_lo:[1,0,0] neg_hi:[1,0,0]
	v_pk_add_f32 v[102:103], v[102:103], v[0:1]
	v_mov_b32_e32 v85, v89
	v_mov_b32_e32 v78, v16
	;; [unrolled: 1-line block ×3, first 2 shown]
	v_pk_fma_f32 v[80:81], v[36:37], s[6:7], v[18:19] op_sel:[1,0,0] neg_lo:[1,0,0] neg_hi:[1,0,0]
	v_pk_fma_f32 v[14:15], v[2:3], s[6:7], v[18:19]
	v_pk_mul_f32 v[22:23], v[44:45], s[26:27]
	v_mov_b32_e32 v98, v96
	v_pk_add_f32 v[70:71], v[84:85], v[70:71]
	v_pk_add_f32 v[72:73], v[90:91], v[72:73]
	;; [unrolled: 1-line block ×3, first 2 shown]
	v_pk_fma_f32 v[84:85], v[94:95], s[34:35], v[92:93] neg_lo:[0,0,1] neg_hi:[0,0,1]
	v_mov_b32_e32 v81, v15
	v_pk_fma_f32 v[82:83], v[38:39], s[10:11], v[22:23] op_sel:[1,0,0] neg_lo:[1,0,0] neg_hi:[1,0,0]
	v_pk_fma_f32 v[20:21], v[4:5], s[10:11], v[22:23]
	v_mov_b32_e32 v85, v97
	v_pk_add_f32 v[72:73], v[98:99], v[72:73]
	v_pk_add_f32 v[68:69], v[78:79], v[68:69]
	v_mov_b32_e32 v83, v21
	v_pk_add_f32 v[70:71], v[84:85], v[70:71]
	v_pk_add_f32 v[62:63], v[62:63], v[72:73]
	;; [unrolled: 1-line block ×6, first 2 shown]
	v_pk_mul_f32 v[68:69], v[44:45], s[38:39]
	s_mov_b32 s38, s11
	v_pk_mul_f32 v[74:75], v[50:51], s[18:19] op_sel_hi:[1,0]
	v_pk_add_f32 v[70:71], v[76:77], v[70:71]
	v_pk_fma_f32 v[72:73], v[48:49], s[38:39], v[74:75] op_sel:[0,0,1] op_sel_hi:[1,0,0] neg_lo:[0,0,1] neg_hi:[0,0,1]
	v_pk_fma_f32 v[74:75], v[48:49], s[38:39], v[74:75] op_sel:[0,0,1] op_sel_hi:[1,0,0]
	v_mov_b32_e32 v76, v72
	v_mov_b32_e32 v77, v75
	s_mov_b32 s14, 0x3eedf032
	v_pk_add_f32 v[66:67], v[66:67], v[70:71]
	v_pk_mul_f32 v[70:71], v[46:47], s[30:31]
	v_pk_add_f32 v[92:93], v[76:77], v[0:1]
	v_pk_mul_f32 v[76:77], v[54:55], s[16:17] op_sel_hi:[1,0]
	s_mov_b32 s30, 0x3f6f5d39
	s_mov_b32 s21, s14
	v_pk_fma_f32 v[78:79], v[52:53], s[24:25], v[76:77] op_sel:[0,0,1] op_sel_hi:[1,0,0] neg_lo:[0,0,1] neg_hi:[0,0,1]
	v_pk_fma_f32 v[76:77], v[52:53], s[24:25], v[76:77] op_sel:[0,0,1] op_sel_hi:[1,0,0]
	v_pk_mul_f32 v[80:81], v[58:59], s[30:31] op_sel_hi:[1,0]
	s_mov_b32 s15, s20
	v_pk_mul_f32 v[26:27], v[46:47], s[20:21]
	v_mov_b32_e32 v94, v78
	v_mov_b32_e32 v95, v77
	v_pk_fma_f32 v[82:83], v[56:57], s[36:37], v[80:81] op_sel:[0,0,1] op_sel_hi:[1,0,0] neg_lo:[0,0,1] neg_hi:[0,0,1]
	v_pk_fma_f32 v[80:81], v[56:57], s[36:37], v[80:81] op_sel:[0,0,1] op_sel_hi:[1,0,0]
	v_pk_fma_f32 v[100:101], v[42:43], s[14:15], v[26:27] op_sel:[1,0,0] neg_lo:[1,0,0] neg_hi:[1,0,0]
	v_pk_fma_f32 v[24:25], v[6:7], s[14:15], v[26:27]
	ds_write2_b64 v138, v[64:65], v[66:67] offset1:1
	v_pk_mul_f32 v[66:67], v[40:41], s[20:21]
	v_mov_b32_e32 v96, v82
	v_mov_b32_e32 v97, v81
	v_pk_add_f32 v[92:93], v[94:95], v[92:93]
	v_pk_mul_f32 v[98:99], v[50:51], s[2:3] op_sel_hi:[1,0]
	v_mov_b32_e32 v101, v25
	v_pk_add_f32 v[30:31], v[30:31], v[60:61]
	v_pk_fma_f32 v[86:87], v[36:37], s[14:15], v[66:67] op_sel:[1,0,0] neg_lo:[1,0,0] neg_hi:[1,0,0]
	v_pk_fma_f32 v[60:61], v[2:3], s[14:15], v[66:67]
	v_pk_add_f32 v[92:93], v[96:97], v[92:93]
	v_pk_fma_f32 v[96:97], v[48:49], s[36:37], v[98:99] op_sel:[0,0,1] op_sel_hi:[1,0,0] neg_lo:[0,0,1] neg_hi:[0,0,1]
	v_pk_fma_f32 v[98:99], v[48:49], s[36:37], v[98:99] op_sel:[0,0,1] op_sel_hi:[1,0,0]
	v_pk_add_f32 v[84:85], v[100:101], v[62:63]
	v_mov_b32_e32 v87, v61
	v_pk_fma_f32 v[88:89], v[38:39], s[12:13], v[68:69] op_sel:[1,0,0] neg_lo:[1,0,0] neg_hi:[1,0,0]
	v_pk_fma_f32 v[62:63], v[4:5], s[12:13], v[68:69]
	v_mov_b32_e32 v100, v96
	v_mov_b32_e32 v101, v99
	;; [unrolled: 1-line block ×3, first 2 shown]
	v_pk_fma_f32 v[90:91], v[42:43], s[0:1], v[70:71] op_sel:[1,0,0] neg_lo:[1,0,0] neg_hi:[1,0,0]
	v_pk_fma_f32 v[64:65], v[6:7], s[0:1], v[70:71]
	v_pk_add_f32 v[86:87], v[86:87], v[92:93]
	v_pk_add_f32 v[114:115], v[100:101], v[0:1]
	s_mov_b32 s36, s1
	v_pk_mul_f32 v[100:101], v[54:55], s[6:7] op_sel_hi:[1,0]
	v_mov_b32_e32 v91, v65
	v_pk_add_f32 v[86:87], v[88:89], v[86:87]
	s_mov_b32 s30, 0x3e750f2a
	v_pk_fma_f32 v[102:103], v[52:53], s[36:37], v[100:101] op_sel:[0,0,1] op_sel_hi:[1,0,0] neg_lo:[0,0,1] neg_hi:[0,0,1]
	v_pk_fma_f32 v[100:101], v[52:53], s[36:37], v[100:101] op_sel:[0,0,1] op_sel_hi:[1,0,0]
	v_pk_mul_f32 v[104:105], v[58:59], s[14:15] op_sel_hi:[1,0]
	v_pk_mul_f32 v[120:121], v[50:51], s[0:1] op_sel_hi:[1,0]
	v_pk_add_f32 v[86:87], v[90:91], v[86:87]
	v_pk_mul_f32 v[90:91], v[40:41], s[34:35]
	s_mov_b32 s42, s17
	s_mov_b32 s43, s30
	;; [unrolled: 1-line block ×3, first 2 shown]
	v_mov_b32_e32 v116, v102
	v_mov_b32_e32 v117, v101
	v_pk_fma_f32 v[106:107], v[56:57], s[20:21], v[104:105] op_sel:[0,0,1] op_sel_hi:[1,0,0] neg_lo:[0,0,1] neg_hi:[0,0,1]
	v_pk_fma_f32 v[104:105], v[56:57], s[20:21], v[104:105] op_sel:[0,0,1] op_sel_hi:[1,0,0]
	v_pk_fma_f32 v[122:123], v[48:49], s[36:37], v[120:121] op_sel:[0,0,1] op_sel_hi:[1,0,0] neg_lo:[0,0,1] neg_hi:[0,0,1]
	v_pk_fma_f32 v[124:125], v[48:49], s[36:37], v[120:121] op_sel:[0,0,1] op_sel_hi:[1,0,0]
	ds_write2_b64 v138, v[84:85], v[86:87] offset0:2 offset1:3
	v_pk_fma_f32 v[108:109], v[36:37], s[18:19], v[90:91] op_sel:[1,0,0] neg_lo:[1,0,0] neg_hi:[1,0,0]
	v_pk_fma_f32 v[84:85], v[2:3], s[18:19], v[90:91]
	s_mov_b32 s31, s17
	v_pk_mul_f32 v[92:93], v[44:45], s[42:43]
	s_mov_b32 s40, s13
	s_mov_b32 s41, s34
	v_mov_b32_e32 v118, v106
	v_mov_b32_e32 v119, v105
	v_pk_add_f32 v[114:115], v[116:117], v[114:115]
	v_mov_b32_e32 v120, v122
	v_mov_b32_e32 v121, v125
	;; [unrolled: 1-line block ×3, first 2 shown]
	v_pk_fma_f32 v[110:111], v[38:39], s[30:31], v[92:93] op_sel:[1,0,0] neg_lo:[1,0,0] neg_hi:[1,0,0]
	v_pk_fma_f32 v[86:87], v[4:5], s[30:31], v[92:93]
	s_mov_b32 s35, s13
	v_pk_mul_f32 v[94:95], v[46:47], s[40:41]
	v_pk_add_f32 v[114:115], v[118:119], v[114:115]
	v_pk_add_f32 v[148:149], v[120:121], v[0:1]
	v_pk_mul_f32 v[120:121], v[54:55], s[10:11] op_sel_hi:[1,0]
	v_mov_b32_e32 v111, v87
	v_pk_fma_f32 v[112:113], v[42:43], s[34:35], v[94:95] op_sel:[1,0,0] neg_lo:[1,0,0] neg_hi:[1,0,0]
	v_pk_fma_f32 v[88:89], v[6:7], s[34:35], v[94:95]
	v_pk_add_f32 v[108:109], v[108:109], v[114:115]
	v_pk_fma_f32 v[126:127], v[52:53], s[38:39], v[120:121] op_sel:[0,0,1] op_sel_hi:[1,0,0] neg_lo:[0,0,1] neg_hi:[0,0,1]
	v_pk_fma_f32 v[120:121], v[52:53], s[38:39], v[120:121] op_sel:[0,0,1] op_sel_hi:[1,0,0]
	v_pk_mul_f32 v[128:129], v[58:59], s[12:13] op_sel_hi:[1,0]
	v_mov_b32_e32 v113, v89
	v_pk_add_f32 v[108:109], v[110:111], v[108:109]
	v_pk_mul_f32 v[114:115], v[40:41], s[42:43]
	v_mov_b32_e32 v150, v126
	v_mov_b32_e32 v151, v121
	v_pk_fma_f32 v[130:131], v[56:57], s[28:29], v[128:129] op_sel:[0,0,1] op_sel_hi:[1,0,0] neg_lo:[0,0,1] neg_hi:[0,0,1]
	v_pk_fma_f32 v[128:129], v[56:57], s[28:29], v[128:129] op_sel:[0,0,1] op_sel_hi:[1,0,0]
	v_pk_add_f32 v[140:141], v[112:113], v[108:109]
	v_pk_fma_f32 v[142:143], v[36:37], s[30:31], v[114:115] op_sel:[1,0,0] neg_lo:[1,0,0] neg_hi:[1,0,0]
	v_pk_fma_f32 v[108:109], v[2:3], s[30:31], v[114:115]
	v_pk_mul_f32 v[116:117], v[44:45], s[20:21]
	v_mov_b32_e32 v152, v130
	v_mov_b32_e32 v153, v129
	v_pk_add_f32 v[148:149], v[150:151], v[148:149]
	v_mov_b32_e32 v143, v109
	v_pk_fma_f32 v[144:145], v[38:39], s[14:15], v[116:117] op_sel:[1,0,0] neg_lo:[1,0,0] neg_hi:[1,0,0]
	v_pk_fma_f32 v[110:111], v[4:5], s[14:15], v[116:117]
	v_pk_mul_f32 v[118:119], v[46:47], s[22:23]
	v_pk_add_f32 v[148:149], v[152:153], v[148:149]
	v_mov_b32_e32 v145, v111
	v_pk_fma_f32 v[146:147], v[42:43], s[2:3], v[118:119] op_sel:[1,0,0] neg_lo:[1,0,0] neg_hi:[1,0,0]
	v_pk_fma_f32 v[112:113], v[6:7], s[2:3], v[118:119]
	v_pk_add_f32 v[142:143], v[142:143], v[148:149]
	v_mov_b32_e32 v147, v113
	v_pk_add_f32 v[142:143], v[144:145], v[142:143]
	v_pk_mul_f32 v[50:51], v[50:51], s[16:17] op_sel_hi:[1,0]
	v_pk_add_f32 v[142:143], v[146:147], v[142:143]
	v_pk_fma_f32 v[146:147], v[48:49], s[24:25], v[50:51] op_sel:[0,0,1] op_sel_hi:[1,0,0] neg_lo:[0,0,1] neg_hi:[0,0,1]
	v_pk_fma_f32 v[48:49], v[48:49], s[24:25], v[50:51] op_sel:[0,0,1] op_sel_hi:[1,0,0]
	v_pk_mul_f32 v[54:55], v[54:55], s[14:15] op_sel_hi:[1,0]
	v_mov_b32_e32 v50, v146
	v_mov_b32_e32 v51, v49
	v_pk_fma_f32 v[148:149], v[52:53], s[20:21], v[54:55] op_sel:[0,0,1] op_sel_hi:[1,0,0] neg_lo:[0,0,1] neg_hi:[0,0,1]
	v_pk_fma_f32 v[52:53], v[52:53], s[20:21], v[54:55] op_sel:[0,0,1] op_sel_hi:[1,0,0]
	v_pk_mul_f32 v[58:59], v[58:59], s[0:1] op_sel_hi:[1,0]
	v_pk_mul_f32 v[40:41], v[40:41], s[40:41]
	v_pk_add_f32 v[50:51], v[50:51], v[0:1]
	v_mov_b32_e32 v54, v148
	v_mov_b32_e32 v55, v53
	v_pk_fma_f32 v[150:151], v[56:57], s[36:37], v[58:59] op_sel:[0,0,1] op_sel_hi:[1,0,0] neg_lo:[0,0,1] neg_hi:[0,0,1]
	v_pk_fma_f32 v[56:57], v[56:57], s[36:37], v[58:59] op_sel:[0,0,1] op_sel_hi:[1,0,0]
	ds_write2_b64 v138, v[140:141], v[142:143] offset0:4 offset1:5
	v_pk_fma_f32 v[36:37], v[36:37], s[34:35], v[40:41] op_sel:[1,0,0] neg_lo:[1,0,0] neg_hi:[1,0,0]
	v_pk_fma_f32 v[140:141], v[2:3], s[34:35], v[40:41]
	v_pk_mul_f32 v[44:45], v[44:45], s[22:23]
	v_mov_b32_e32 v58, v150
	v_mov_b32_e32 v59, v57
	v_pk_add_f32 v[50:51], v[54:55], v[50:51]
	v_mov_b32_e32 v37, v141
	v_pk_fma_f32 v[38:39], v[38:39], s[2:3], v[44:45] op_sel:[1,0,0] neg_lo:[1,0,0] neg_hi:[1,0,0]
	v_pk_fma_f32 v[142:143], v[4:5], s[2:3], v[44:45]
	v_pk_add_f32 v[50:51], v[58:59], v[50:51]
	v_mov_b32_e32 v39, v143
	v_pk_add_f32 v[36:37], v[36:37], v[50:51]
	v_pk_mul_f32 v[46:47], v[46:47], s[26:27]
	v_pk_add_f32 v[36:37], v[38:39], v[36:37]
	v_pk_fma_f32 v[38:39], v[2:3], s[34:35], v[40:41] neg_lo:[0,0,1] neg_hi:[0,0,1]
	v_pk_fma_f32 v[42:43], v[42:43], s[10:11], v[46:47] op_sel:[1,0,0] neg_lo:[1,0,0] neg_hi:[1,0,0]
	v_mov_b32_e32 v141, v39
	v_pk_fma_f32 v[38:39], v[4:5], s[2:3], v[44:45] neg_lo:[0,0,1] neg_hi:[0,0,1]
	v_pk_fma_f32 v[144:145], v[6:7], s[10:11], v[46:47]
	v_mov_b32_e32 v143, v39
	v_pk_fma_f32 v[38:39], v[6:7], s[10:11], v[46:47] neg_lo:[0,0,1] neg_hi:[0,0,1]
	v_mov_b32_e32 v49, v147
	v_mov_b32_e32 v43, v145
	;; [unrolled: 1-line block ×3, first 2 shown]
	v_pk_add_f32 v[38:39], v[48:49], v[0:1]
	v_mov_b32_e32 v53, v149
	v_mov_b32_e32 v57, v151
	v_pk_add_f32 v[38:39], v[52:53], v[38:39]
	v_pk_add_f32 v[36:37], v[42:43], v[36:37]
	;; [unrolled: 1-line block ×3, first 2 shown]
	v_mov_b32_e32 v125, v123
	v_pk_add_f32 v[38:39], v[140:141], v[38:39]
	v_mov_b32_e32 v99, v97
	v_pk_add_f32 v[38:39], v[142:143], v[38:39]
	;; [unrolled: 2-line block ×3, first 2 shown]
	ds_write2_b64 v138, v[36:37], v[38:39] offset0:6 offset1:7
	v_pk_fma_f32 v[36:37], v[2:3], s[30:31], v[114:115] neg_lo:[0,0,1] neg_hi:[0,0,1]
	v_pk_fma_f32 v[38:39], v[2:3], s[18:19], v[90:91] neg_lo:[0,0,1] neg_hi:[0,0,1]
	v_mov_b32_e32 v109, v37
	v_pk_fma_f32 v[36:37], v[4:5], s[14:15], v[116:117] neg_lo:[0,0,1] neg_hi:[0,0,1]
	v_mov_b32_e32 v85, v39
	;; [unrolled: 2-line block ×5, first 2 shown]
	v_pk_add_f32 v[36:37], v[124:125], v[0:1]
	v_mov_b32_e32 v89, v39
	v_pk_add_f32 v[38:39], v[98:99], v[0:1]
	v_mov_b32_e32 v101, v103
	v_mov_b32_e32 v129, v131
	v_pk_add_f32 v[36:37], v[120:121], v[36:37]
	v_mov_b32_e32 v105, v107
	v_pk_add_f32 v[38:39], v[100:101], v[38:39]
	v_pk_add_f32 v[36:37], v[128:129], v[36:37]
	;; [unrolled: 1-line block ×9, first 2 shown]
	ds_write2_b64 v138, v[36:37], v[38:39] offset0:8 offset1:9
	v_pk_fma_f32 v[36:37], v[2:3], s[14:15], v[66:67] neg_lo:[0,0,1] neg_hi:[0,0,1]
	v_mov_b32_e32 v75, v73
	v_mov_b32_e32 v61, v37
	v_pk_fma_f32 v[36:37], v[4:5], s[12:13], v[68:69] neg_lo:[0,0,1] neg_hi:[0,0,1]
	v_mov_b32_e32 v35, v33
	v_mov_b32_e32 v63, v37
	v_pk_fma_f32 v[36:37], v[6:7], s[0:1], v[70:71] neg_lo:[0,0,1] neg_hi:[0,0,1]
	v_mov_b32_e32 v77, v79
	v_mov_b32_e32 v65, v37
	v_pk_add_f32 v[36:37], v[74:75], v[0:1]
	v_mov_b32_e32 v9, v11
	v_pk_add_f32 v[0:1], v[34:35], v[0:1]
	v_mov_b32_e32 v81, v83
	;; [unrolled: 2-line block ×3, first 2 shown]
	v_pk_fma_f32 v[2:3], v[2:3], s[6:7], v[18:19] neg_lo:[0,0,1] neg_hi:[0,0,1]
	v_pk_add_f32 v[0:1], v[8:9], v[0:1]
	v_pk_add_f32 v[36:37], v[80:81], v[36:37]
	v_mov_b32_e32 v15, v3
	v_pk_fma_f32 v[2:3], v[4:5], s[10:11], v[22:23] neg_lo:[0,0,1] neg_hi:[0,0,1]
	v_pk_add_f32 v[0:1], v[12:13], v[0:1]
	v_pk_add_f32 v[36:37], v[60:61], v[36:37]
	v_mov_b32_e32 v21, v3
	;; [unrolled: 4-line block ×3, first 2 shown]
	v_pk_add_f32 v[0:1], v[20:21], v[0:1]
	s_movk_i32 s0, 0xffa0
	v_pk_add_f32 v[36:37], v[64:65], v[36:37]
	v_pk_add_f32 v[0:1], v[24:25], v[0:1]
	v_mad_i32_i24 v38, v132, s0, v138
	ds_write2_b64 v138, v[36:37], v[0:1] offset0:10 offset1:11
	ds_write_b64 v138, v[30:31] offset:96
	v_add_u32_e32 v1, 0xc00, v38
	s_waitcnt lgkmcnt(0)
	s_barrier
	ds_read2_b64 v[20:23], v1 offset0:123 offset1:201
	v_add_u32_e32 v1, 0x1000, v38
	v_lshl_add_u32 v39, v132, 3, v137
	v_add_u32_e32 v0, 0x800, v38
	ds_read2_b64 v[8:11], v1 offset0:164 offset1:242
	v_add_u32_e32 v1, 0x1800, v38
	v_lshl_add_u32 v42, v135, 3, v137
	ds_read_b64 v[36:37], v39
	ds_read_b64 v[34:35], v42
	ds_read2_b64 v[12:15], v38 offset0:169 offset1:247
	ds_read2_b64 v[16:19], v0 offset0:82 offset1:160
	;; [unrolled: 1-line block ×3, first 2 shown]
	v_cmp_gt_u32_e64 s[0:1], 13, v132
	v_lshlrev_b32_e32 v40, 3, v134
	v_lshlrev_b32_e32 v41, 3, v136
                                        ; implicit-def: $vgpr32
                                        ; implicit-def: $vgpr6
                                        ; implicit-def: $vgpr2
	s_and_saveexec_b64 s[2:3], s[0:1]
	s_cbranch_execz .LBB0_15
; %bb.14:
	v_add3_u32 v30, 0, v40, v41
	v_add_u32_e32 v4, 0x1400, v38
	ds_read2_b64 v[0:3], v0 offset0:69 offset1:238
	ds_read2_b64 v[4:7], v4 offset0:23 offset1:192
	ds_read_b64 v[30:31], v30
	ds_read_b64 v[32:33], v38 offset:8008
.LBB0_15:
	s_or_b64 exec, exec, s[2:3]
	s_movk_i32 s10, 0x4f
	v_mul_lo_u16_sdwa v43, v132, s10 dst_sel:DWORD dst_unused:UNUSED_PAD src0_sel:BYTE_0 src1_sel:DWORD
	v_mul_lo_u16_sdwa v44, v135, s10 dst_sel:DWORD dst_unused:UNUSED_PAD src0_sel:BYTE_0 src1_sel:DWORD
	v_lshrrev_b16_e32 v45, 10, v43
	v_lshrrev_b16_e32 v67, 10, v44
	v_mul_lo_u16_e32 v43, 13, v45
	v_mul_lo_u16_e32 v44, 13, v67
	v_sub_u16_e32 v66, v132, v43
	v_mov_b32_e32 v43, 5
	v_sub_u16_e32 v68, v135, v44
	v_mul_u32_u24_sdwa v44, v68, v43 dst_sel:DWORD dst_unused:UNUSED_PAD src0_sel:BYTE_0 src1_sel:DWORD
	v_lshlrev_b32_e32 v44, 3, v44
	global_load_dwordx4 v[46:49], v44, s[4:5]
	global_load_dwordx2 v[62:63], v44, s[4:5] offset:32
	global_load_dwordx4 v[50:53], v44, s[4:5] offset:16
	v_mul_u32_u24_sdwa v44, v66, v43 dst_sel:DWORD dst_unused:UNUSED_PAD src0_sel:BYTE_0 src1_sel:DWORD
	v_lshlrev_b32_e32 v44, 3, v44
	global_load_dwordx4 v[54:57], v44, s[4:5]
	global_load_dwordx4 v[58:61], v44, s[4:5] offset:16
	global_load_dwordx2 v[64:65], v44, s[4:5] offset:32
	s_movk_i32 s6, 0x270
	v_mov_b32_e32 v44, 3
	v_mad_u32_u24 v45, v45, s6, 0
	v_mad_u32_u24 v67, v67, s6, 0
	v_lshlrev_b32_sdwa v66, v44, v66 dst_sel:DWORD dst_unused:UNUSED_PAD src0_sel:DWORD src1_sel:BYTE_0
	v_lshlrev_b32_sdwa v68, v44, v68 dst_sel:DWORD dst_unused:UNUSED_PAD src0_sel:DWORD src1_sel:BYTE_0
	v_add3_u32 v45, v45, v66, v41
	v_add3_u32 v73, v67, v68, v41
	s_mov_b32 s2, 0x3f5db3d7
	s_mov_b32 s3, 0xbf5db3d7
	s_waitcnt lgkmcnt(0)
	s_barrier
	s_waitcnt vmcnt(5)
	v_pk_mul_f32 v[66:67], v[46:47], v[14:15] op_sel:[0,1]
	s_waitcnt vmcnt(4)
	v_pk_mul_f32 v[74:75], v[26:27], v[62:63] op_sel:[0,1]
	v_pk_mul_f32 v[68:69], v[48:49], v[18:19] op_sel:[0,1]
	s_waitcnt vmcnt(2)
	v_pk_mul_f32 v[76:77], v[54:55], v[12:13] op_sel:[0,1]
	;; [unrolled: 3-line block ×4, first 2 shown]
	v_pk_mul_f32 v[70:71], v[50:51], v[22:23] op_sel:[0,1]
	v_pk_fma_f32 v[86:87], v[46:47], v[14:15], v[66:67] op_sel:[0,0,1] op_sel_hi:[1,1,0] neg_lo:[0,0,1] neg_hi:[0,0,1]
	v_pk_fma_f32 v[14:15], v[46:47], v[14:15], v[66:67] op_sel:[0,0,1] op_sel_hi:[1,0,0]
	v_pk_fma_f32 v[66:67], v[26:27], v[62:63], v[74:75] op_sel:[0,0,1] op_sel_hi:[1,1,0] neg_lo:[0,0,1] neg_hi:[0,0,1]
	v_pk_fma_f32 v[26:27], v[26:27], v[62:63], v[74:75] op_sel:[0,0,1] op_sel_hi:[1,0,0]
	;; [unrolled: 2-line block ×7, first 2 shown]
	v_mov_b32_e32 v72, v53
	v_pk_fma_f32 v[46:47], v[48:49], v[18:19], v[68:69] op_sel:[0,0,1] op_sel_hi:[1,1,0] neg_lo:[0,0,1] neg_hi:[0,0,1]
	v_pk_fma_f32 v[18:19], v[48:49], v[18:19], v[68:69] op_sel:[0,0,1] op_sel_hi:[1,0,0]
	v_pk_fma_f32 v[48:49], v[50:51], v[22:23], v[70:71] op_sel:[0,0,1] op_sel_hi:[1,1,0] neg_lo:[0,0,1] neg_hi:[0,0,1]
	v_pk_fma_f32 v[22:23], v[50:51], v[22:23], v[70:71] op_sel:[0,0,1] op_sel_hi:[1,0,0]
	v_mov_b32_e32 v55, v17
	v_mov_b32_e32 v57, v21
	;; [unrolled: 1-line block ×4, first 2 shown]
	v_pk_mul_f32 v[50:51], v[10:11], v[72:73] op_sel_hi:[1,0]
	v_mov_b32_e32 v47, v19
	v_mov_b32_e32 v49, v23
	;; [unrolled: 1-line block ×3, first 2 shown]
	v_pk_add_f32 v[18:19], v[54:55], v[58:59]
	v_pk_add_f32 v[20:21], v[54:55], v[58:59] neg_lo:[0,1] neg_hi:[0,1]
	v_pk_add_f32 v[22:23], v[56:57], v[60:61]
	v_mov_b32_e32 v87, v15
	v_pk_fma_f32 v[14:15], v[10:11], v[52:53], v[50:51] op_sel:[0,0,1] op_sel_hi:[1,1,0] neg_lo:[0,0,1] neg_hi:[0,0,1]
	v_pk_fma_f32 v[10:11], v[10:11], v[52:53], v[50:51] op_sel:[0,0,1] op_sel_hi:[1,0,0]
	v_pk_fma_f32 v[18:19], v[18:19], 0.5, v[36:37] op_sel_hi:[1,0,1] neg_lo:[1,0,0] neg_hi:[1,0,0]
	v_pk_mul_f32 v[20:21], v[20:21], s[2:3] op_sel_hi:[1,0]
	v_pk_fma_f32 v[22:23], v[22:23], 0.5, v[62:63] op_sel_hi:[1,0,1] neg_lo:[1,0,0] neg_hi:[1,0,0]
	v_pk_add_f32 v[50:51], v[56:57], v[60:61] neg_lo:[0,1] neg_hi:[0,1]
	v_pk_add_f32 v[12:13], v[36:37], v[54:55]
	v_pk_add_f32 v[36:37], v[20:21], v[18:19] op_sel:[1,0] op_sel_hi:[0,1]
	v_pk_fma_f32 v[52:53], v[50:51], s[2:3], v[22:23] op_sel:[0,0,1] op_sel_hi:[1,0,0]
	v_pk_fma_f32 v[22:23], v[50:51], s[2:3], v[22:23] op_sel:[0,0,1] op_sel_hi:[1,0,0] neg_lo:[1,0,0] neg_hi:[1,0,0]
	v_pk_add_f32 v[18:19], v[18:19], v[20:21] op_sel:[0,1] op_sel_hi:[1,0] neg_lo:[0,1] neg_hi:[0,1]
	v_mov_b32_e32 v21, v37
	v_mov_b32_e32 v50, v52
	v_mov_b32_e32 v51, v23
	v_mul_f32_e32 v37, 0xbf5db3d7, v53
	v_pk_add_f32 v[16:17], v[62:63], v[56:57]
	v_mov_b32_e32 v20, v18
	v_mul_f32_e32 v18, 0x3f5db3d7, v22
	v_fmac_f32_e32 v37, 0.5, v22
	v_pk_mul_f32 v[22:23], v[50:51], 0.5 op_sel_hi:[1,0]
	v_pk_add_f32 v[12:13], v[12:13], v[58:59]
	v_pk_add_f32 v[16:17], v[16:17], v[60:61]
	v_pk_fma_f32 v[22:23], v[50:51], s[2:3], v[22:23] op_sel:[0,0,1] op_sel_hi:[1,1,0] neg_lo:[0,0,1] neg_hi:[0,0,1]
	v_mov_b32_e32 v67, v27
	v_pk_add_f32 v[26:27], v[12:13], v[16:17]
	v_fmac_f32_e32 v18, 0.5, v53
	v_pk_add_f32 v[50:51], v[20:21], v[22:23]
	v_pk_add_f32 v[12:13], v[12:13], v[16:17] neg_lo:[0,1] neg_hi:[0,1]
	v_mov_b32_e32 v15, v11
	v_pk_add_f32 v[8:9], v[34:35], v[46:47]
	v_add_f32_e32 v52, v36, v18
	v_add_f32_e32 v53, v19, v37
	v_sub_f32_e32 v18, v36, v18
	v_sub_f32_e32 v19, v19, v37
	ds_write2_b64 v45, v[50:51], v[12:13] offset0:26 offset1:39
	v_pk_add_f32 v[12:13], v[20:21], v[22:23] neg_lo:[0,1] neg_hi:[0,1]
	v_pk_add_f32 v[8:9], v[8:9], v[14:15]
	ds_write2_b64 v45, v[18:19], v[12:13] offset0:52 offset1:65
	v_pk_add_f32 v[12:13], v[46:47], v[14:15]
	v_pk_add_f32 v[14:15], v[46:47], v[14:15] neg_lo:[0,1] neg_hi:[0,1]
	v_pk_add_f32 v[18:19], v[48:49], v[66:67]
	v_pk_fma_f32 v[12:13], v[12:13], 0.5, v[34:35] op_sel_hi:[1,0,1] neg_lo:[1,0,0] neg_hi:[1,0,0]
	v_pk_mul_f32 v[14:15], v[14:15], s[2:3] op_sel_hi:[1,0]
	v_pk_fma_f32 v[18:19], v[18:19], 0.5, v[86:87] op_sel_hi:[1,0,1] neg_lo:[1,0,0] neg_hi:[1,0,0]
	v_pk_add_f32 v[20:21], v[48:49], v[66:67] neg_lo:[0,1] neg_hi:[0,1]
	v_pk_add_f32 v[16:17], v[14:15], v[12:13] op_sel:[1,0] op_sel_hi:[0,1]
	v_pk_fma_f32 v[22:23], v[20:21], s[2:3], v[18:19] op_sel:[0,0,1] op_sel_hi:[1,0,0]
	v_pk_fma_f32 v[18:19], v[20:21], s[2:3], v[18:19] op_sel:[0,0,1] op_sel_hi:[1,0,0] neg_lo:[1,0,0] neg_hi:[1,0,0]
	v_pk_add_f32 v[12:13], v[12:13], v[14:15] op_sel:[0,1] op_sel_hi:[1,0] neg_lo:[0,1] neg_hi:[0,1]
	v_mov_b32_e32 v15, v17
	v_mov_b32_e32 v20, v22
	;; [unrolled: 1-line block ×3, first 2 shown]
	v_mul_f32_e32 v17, 0xbf5db3d7, v23
	v_pk_add_f32 v[10:11], v[86:87], v[48:49]
	v_mov_b32_e32 v14, v12
	v_mul_f32_e32 v12, 0x3f5db3d7, v18
	v_fmac_f32_e32 v17, 0.5, v18
	v_pk_mul_f32 v[18:19], v[20:21], 0.5 op_sel_hi:[1,0]
	v_pk_add_f32 v[10:11], v[10:11], v[66:67]
	v_pk_fma_f32 v[18:19], v[20:21], s[2:3], v[18:19] op_sel:[0,0,1] op_sel_hi:[1,1,0] neg_lo:[0,0,1] neg_hi:[0,0,1]
	v_pk_add_f32 v[24:25], v[8:9], v[10:11]
	v_fmac_f32_e32 v12, 0.5, v23
	v_pk_add_f32 v[20:21], v[14:15], v[18:19]
	v_pk_add_f32 v[8:9], v[8:9], v[10:11] neg_lo:[0,1] neg_hi:[0,1]
	ds_write2_b64 v45, v[26:27], v[52:53] offset1:13
	v_add_f32_e32 v22, v16, v12
	v_add_f32_e32 v23, v13, v17
	v_sub_f32_e32 v12, v16, v12
	v_sub_f32_e32 v13, v13, v17
	ds_write2_b64 v73, v[20:21], v[8:9] offset0:26 offset1:39
	v_pk_add_f32 v[8:9], v[14:15], v[18:19] neg_lo:[0,1] neg_hi:[0,1]
	ds_write2_b64 v73, v[24:25], v[22:23] offset1:13
	ds_write2_b64 v73, v[12:13], v[8:9] offset0:52 offset1:65
	s_and_saveexec_b64 s[6:7], s[0:1]
	s_cbranch_execz .LBB0_17
; %bb.16:
	v_mul_lo_u16_sdwa v8, v134, s10 dst_sel:DWORD dst_unused:UNUSED_PAD src0_sel:BYTE_0 src1_sel:DWORD
	v_lshrrev_b16_e32 v8, 10, v8
	v_mul_lo_u16_e32 v8, 13, v8
	v_sub_u16_e32 v19, v134, v8
	v_mul_u32_u24_sdwa v8, v19, v43 dst_sel:DWORD dst_unused:UNUSED_PAD src0_sel:BYTE_0 src1_sel:DWORD
	v_lshlrev_b32_e32 v18, 3, v8
	global_load_dwordx4 v[8:11], v18, s[4:5]
	global_load_dwordx4 v[12:15], v18, s[4:5] offset:16
	global_load_dwordx2 v[16:17], v18, s[4:5] offset:32
	v_mov_b32_e32 v22, v1
	v_lshlrev_b32_sdwa v1, v44, v19 dst_sel:DWORD dst_unused:UNUSED_PAD src0_sel:DWORD src1_sel:BYTE_0
	v_mov_b32_e32 v18, v3
	v_mov_b32_e32 v20, v7
	;; [unrolled: 1-line block ×4, first 2 shown]
	v_add3_u32 v1, 0, v1, v41
	v_add_u32_e32 v33, 0x1800, v1
	s_waitcnt vmcnt(2)
	v_pk_mul_f32 v[18:19], v[18:19], v[10:11] op_sel_hi:[0,1]
	s_waitcnt vmcnt(1)
	v_pk_mul_f32 v[20:21], v[20:21], v[14:15] op_sel_hi:[0,1]
	v_pk_mul_f32 v[24:25], v[24:25], v[12:13] op_sel_hi:[0,1]
	s_waitcnt vmcnt(0)
	v_pk_mul_f32 v[26:27], v[26:27], v[16:17] op_sel_hi:[0,1]
	v_pk_mul_f32 v[22:23], v[22:23], v[8:9] op_sel_hi:[0,1]
	v_pk_fma_f32 v[34:35], v[2:3], v[10:11], v[18:19] op_sel:[0,0,1] op_sel_hi:[1,1,0] neg_lo:[0,0,1] neg_hi:[0,0,1]
	v_pk_fma_f32 v[2:3], v[2:3], v[10:11], v[18:19] op_sel:[0,0,1] op_sel_hi:[0,1,0]
	v_pk_fma_f32 v[10:11], v[6:7], v[14:15], v[20:21] op_sel:[0,0,1] op_sel_hi:[1,1,0] neg_lo:[0,0,1] neg_hi:[0,0,1]
	v_pk_fma_f32 v[6:7], v[6:7], v[14:15], v[20:21] op_sel:[0,0,1] op_sel_hi:[0,1,0]
	;; [unrolled: 2-line block ×5, first 2 shown]
	v_mov_b32_e32 v15, v5
	v_mov_b32_e32 v13, v17
	v_mov_b32_e32 v35, v3
	v_mov_b32_e32 v11, v7
	v_mov_b32_e32 v19, v1
	v_pk_add_f32 v[6:7], v[14:15], v[12:13]
	v_pk_add_f32 v[0:1], v[30:31], v[34:35]
	v_pk_add_f32 v[2:3], v[18:19], v[14:15]
	v_pk_add_f32 v[4:5], v[14:15], v[12:13] neg_lo:[0,1] neg_hi:[0,1]
	v_pk_add_f32 v[8:9], v[34:35], v[10:11]
	v_pk_add_f32 v[14:15], v[34:35], v[10:11] neg_lo:[0,1] neg_hi:[0,1]
	v_pk_fma_f32 v[6:7], v[6:7], 0.5, v[18:19] op_sel_hi:[1,0,1] neg_lo:[1,0,0] neg_hi:[1,0,0]
	v_pk_add_f32 v[0:1], v[0:1], v[10:11]
	v_pk_add_f32 v[2:3], v[2:3], v[12:13]
	v_pk_fma_f32 v[8:9], v[8:9], 0.5, v[30:31] op_sel_hi:[1,0,1] neg_lo:[1,0,0] neg_hi:[1,0,0]
	v_pk_mul_f32 v[10:11], v[14:15], s[2:3] op_sel_hi:[1,0]
	v_pk_fma_f32 v[14:15], v[4:5], s[2:3], v[6:7] op_sel:[0,0,1] op_sel_hi:[1,0,0]
	v_pk_fma_f32 v[4:5], v[4:5], s[2:3], v[6:7] op_sel:[0,0,1] op_sel_hi:[1,0,0] neg_lo:[1,0,0] neg_hi:[1,0,0]
	v_pk_add_f32 v[12:13], v[0:1], v[2:3]
	v_pk_add_f32 v[6:7], v[8:9], v[10:11] op_sel:[0,1] op_sel_hi:[1,0] neg_lo:[0,1] neg_hi:[0,1]
	v_pk_add_f32 v[8:9], v[8:9], v[10:11] op_sel:[0,1] op_sel_hi:[1,0]
	v_pk_add_f32 v[0:1], v[0:1], v[2:3] neg_lo:[0,1] neg_hi:[0,1]
	v_mov_b32_e32 v2, v14
	v_mov_b32_e32 v3, v5
	v_mov_b32_e32 v10, v6
	v_mov_b32_e32 v11, v9
	v_mul_f32_e32 v6, 0xbf5db3d7, v15
	v_mul_f32_e32 v9, 0x3f5db3d7, v4
	v_pk_mul_f32 v[16:17], v[2:3], 0.5 op_sel_hi:[1,0]
	v_fmac_f32_e32 v6, 0.5, v4
	v_fmac_f32_e32 v9, 0.5, v15
	v_pk_fma_f32 v[2:3], v[2:3], s[2:3], v[16:17] op_sel:[0,0,1] op_sel_hi:[1,1,0] neg_lo:[0,0,1] neg_hi:[0,0,1]
	v_sub_f32_e32 v5, v7, v6
	v_sub_f32_e32 v4, v8, v9
	v_add_f32_e32 v7, v7, v6
	v_add_f32_e32 v6, v8, v9
	v_pk_add_f32 v[8:9], v[10:11], v[2:3]
	ds_write2_b64 v33, v[12:13], v[6:7] offset0:168 offset1:181
	v_pk_add_f32 v[2:3], v[10:11], v[2:3] neg_lo:[0,1] neg_hi:[0,1]
	ds_write2_b64 v33, v[8:9], v[0:1] offset0:194 offset1:207
	ds_write2_b64 v33, v[4:5], v[2:3] offset0:220 offset1:233
.LBB0_17:
	s_or_b64 exec, exec, s[6:7]
	s_waitcnt lgkmcnt(0)
	s_barrier
	s_and_saveexec_b64 s[0:1], vcc
	s_cbranch_execz .LBB0_19
; %bb.18:
	v_mul_u32_u24_e32 v0, 12, v132
	v_lshlrev_b32_e32 v0, 3, v0
	v_add_u32_e32 v1, 0x1800, v38
	global_load_dwordx4 v[44:47], v0, s[4:5] offset:568
	global_load_dwordx4 v[34:37], v0, s[4:5] offset:552
	global_load_dwordx4 v[50:53], v0, s[4:5] offset:536
	global_load_dwordx4 v[22:25], v0, s[4:5] offset:520
	ds_read2_b64 v[30:33], v1 offset0:90 offset1:168
	global_load_dwordx4 v[54:57], v0, s[4:5] offset:600
	global_load_dwordx4 v[58:61], v0, s[4:5] offset:584
	v_add3_u32 v2, 0, v40, v41
	ds_read_b64 v[20:21], v42
	ds_read_b64 v[0:1], v39
	ds_read_b64 v[26:27], v2
	v_add_u32_e32 v2, 0x400, v38
	ds_read2_b64 v[62:65], v2 offset0:106 offset1:184
	v_add_u32_e32 v2, 0x1400, v38
	ds_read2_b64 v[66:69], v2 offset0:62 offset1:140
	;; [unrolled: 2-line block ×4, first 2 shown]
	v_mad_u64_u32 v[2:3], s[0:1], s8, v133, 0
	v_mov_b32_e32 v4, v3
	v_mad_u64_u32 v[4:5], s[0:1], s9, v133, v[4:5]
	v_mov_b32_e32 v3, v4
	v_add_u32_e32 v5, 0x4e, v133
	v_lshl_add_u64 v[78:79], v[2:3], 3, v[28:29]
	v_mad_u64_u32 v[2:3], s[0:1], s8, v5, 0
	v_mov_b32_e32 v4, v3
	v_mad_u64_u32 v[4:5], s[0:1], s9, v5, v[4:5]
	v_mov_b32_e32 v3, v4
	v_add_u32_e32 v5, 0x9c, v133
	v_lshl_add_u64 v[80:81], v[2:3], 3, v[28:29]
	v_mad_u64_u32 v[2:3], s[0:1], s8, v5, 0
	v_mov_b32_e32 v4, v3
	v_mad_u64_u32 v[4:5], s[0:1], s9, v5, v[4:5]
	v_mov_b32_e32 v3, v4
	v_add_u32_e32 v5, 0xea, v133
	v_lshl_add_u64 v[48:49], v[2:3], 3, v[28:29]
	v_mad_u64_u32 v[2:3], s[0:1], s8, v5, 0
	v_mov_b32_e32 v4, v3
	v_mad_u64_u32 v[4:5], s[0:1], s9, v5, v[4:5]
	v_mov_b32_e32 v3, v4
	v_add_u32_e32 v5, 0x138, v133
	v_lshl_add_u64 v[40:41], v[2:3], 3, v[28:29]
	v_mad_u64_u32 v[2:3], s[0:1], s8, v5, 0
	v_mov_b32_e32 v4, v3
	v_mad_u64_u32 v[4:5], s[0:1], s9, v5, v[4:5]
	v_mov_b32_e32 v3, v4
	v_add_u32_e32 v5, 0x186, v133
	v_lshl_add_u64 v[18:19], v[2:3], 3, v[28:29]
	v_mad_u64_u32 v[2:3], s[0:1], s8, v5, 0
	v_mov_b32_e32 v4, v3
	v_mad_u64_u32 v[4:5], s[0:1], s9, v5, v[4:5]
	v_mov_b32_e32 v3, v4
	v_add_u32_e32 v5, 0x1d4, v133
	v_lshl_add_u64 v[16:17], v[2:3], 3, v[28:29]
	v_mad_u64_u32 v[2:3], s[0:1], s8, v5, 0
	v_mov_b32_e32 v4, v3
	v_mad_u64_u32 v[4:5], s[0:1], s9, v5, v[4:5]
	v_add_u32_e32 v7, 0x222, v133
	v_mov_b32_e32 v3, v4
	v_mad_u64_u32 v[4:5], s[0:1], s8, v7, 0
	v_mov_b32_e32 v6, v5
	v_mad_u64_u32 v[6:7], s[0:1], s9, v7, v[6:7]
	v_add_u32_e32 v9, 0x270, v133
	v_mov_b32_e32 v5, v6
	;; [unrolled: 5-line block ×6, first 2 shown]
	v_mad_u64_u32 v[14:15], s[0:1], s8, v39, 0
	v_mov_b32_e32 v38, v15
	v_mad_u64_u32 v[38:39], s[0:1], s9, v39, v[38:39]
	v_mov_b32_e32 v15, v38
	v_lshl_add_u64 v[2:3], v[2:3], 3, v[28:29]
	v_lshl_add_u64 v[4:5], v[4:5], 3, v[28:29]
	v_lshl_add_u64 v[6:7], v[6:7], 3, v[28:29]
	v_lshl_add_u64 v[8:9], v[8:9], 3, v[28:29]
	v_lshl_add_u64 v[10:11], v[10:11], 3, v[28:29]
	v_lshl_add_u64 v[12:13], v[12:13], 3, v[28:29]
	v_lshl_add_u64 v[14:15], v[14:15], 3, v[28:29]
	s_waitcnt vmcnt(1) lgkmcnt(7)
	v_pk_mul_f32 v[28:29], v[56:57], v[32:33] op_sel:[0,1]
	s_waitcnt lgkmcnt(0)
	v_pk_mul_f32 v[42:43], v[46:47], v[76:77] op_sel:[0,1]
	v_pk_fma_f32 v[82:83], v[32:33], v[56:57], v[28:29] op_sel:[0,0,1] op_sel_hi:[1,1,0] neg_lo:[0,0,1] neg_hi:[0,0,1]
	v_pk_fma_f32 v[28:29], v[32:33], v[56:57], v[28:29] op_sel:[0,0,1] op_sel_hi:[0,1,0]
	v_mov_b32_e32 v83, v29
	v_pk_mul_f32 v[28:29], v[22:23], v[20:21] op_sel:[0,1]
	s_mov_b32 s0, 0xbeedf032
	v_pk_fma_f32 v[56:57], v[22:23], v[20:21], v[28:29] op_sel:[0,0,1] op_sel_hi:[1,1,0] neg_lo:[0,0,1] neg_hi:[0,0,1]
	v_pk_fma_f32 v[20:21], v[22:23], v[20:21], v[28:29] op_sel:[0,0,1] op_sel_hi:[1,0,0]
	v_pk_mul_f32 v[28:29], v[54:55], v[30:31] op_sel:[0,1]
	v_mov_b32_e32 v57, v21
	v_pk_fma_f32 v[84:85], v[30:31], v[54:55], v[28:29] op_sel:[0,0,1] op_sel_hi:[1,1,0] neg_lo:[0,0,1] neg_hi:[0,0,1]
	v_pk_fma_f32 v[28:29], v[30:31], v[54:55], v[28:29] op_sel:[0,0,1] op_sel_hi:[0,1,0]
	v_mov_b32_e32 v85, v29
	v_pk_mul_f32 v[28:29], v[24:25], v[26:27] op_sel:[0,1]
	s_waitcnt vmcnt(0)
	v_pk_mul_f32 v[30:31], v[58:59], v[66:67] op_sel:[0,1]
	v_pk_fma_f32 v[54:55], v[24:25], v[26:27], v[28:29] op_sel:[0,0,1] op_sel_hi:[1,1,0] neg_lo:[0,0,1] neg_hi:[0,0,1]
	v_pk_fma_f32 v[24:25], v[24:25], v[26:27], v[28:29] op_sel:[0,0,1] op_sel_hi:[1,0,0]
	v_pk_mul_f32 v[26:27], v[60:61], v[68:69] op_sel:[0,1]
	v_pk_add_f32 v[22:23], v[56:57], v[82:83] neg_lo:[0,1] neg_hi:[0,1]
	v_pk_fma_f32 v[86:87], v[68:69], v[60:61], v[26:27] op_sel:[0,0,1] op_sel_hi:[1,1,0] neg_lo:[0,0,1] neg_hi:[0,0,1]
	v_pk_fma_f32 v[26:27], v[68:69], v[60:61], v[26:27] op_sel:[0,0,1] op_sel_hi:[0,1,0]
	v_mov_b32_e32 v87, v27
	v_pk_mul_f32 v[26:27], v[50:51], v[62:63] op_sel:[0,1]
	v_pk_add_f32 v[20:21], v[56:57], v[82:83]
	v_pk_fma_f32 v[60:61], v[50:51], v[62:63], v[26:27] op_sel:[0,0,1] op_sel_hi:[1,1,0] neg_lo:[0,0,1] neg_hi:[0,0,1]
	v_pk_fma_f32 v[26:27], v[50:51], v[62:63], v[26:27] op_sel:[0,0,1] op_sel_hi:[1,0,0]
	v_pk_fma_f32 v[50:51], v[66:67], v[58:59], v[30:31] op_sel:[0,0,1] op_sel_hi:[1,1,0] neg_lo:[0,0,1] neg_hi:[0,0,1]
	v_pk_fma_f32 v[30:31], v[66:67], v[58:59], v[30:31] op_sel:[0,0,1] op_sel_hi:[0,1,0]
	v_mov_b32_e32 v51, v31
	v_pk_mul_f32 v[30:31], v[52:53], v[64:65] op_sel:[0,1]
	v_mov_b32_e32 v55, v25
	v_pk_fma_f32 v[58:59], v[52:53], v[64:65], v[30:31] op_sel:[0,0,1] op_sel_hi:[1,1,0] neg_lo:[0,0,1] neg_hi:[0,0,1]
	v_pk_fma_f32 v[30:31], v[52:53], v[64:65], v[30:31] op_sel:[0,0,1] op_sel_hi:[1,0,0]
	v_pk_fma_f32 v[52:53], v[76:77], v[46:47], v[42:43] op_sel:[0,0,1] op_sel_hi:[1,1,0] neg_lo:[0,0,1] neg_hi:[0,0,1]
	v_pk_fma_f32 v[42:43], v[76:77], v[46:47], v[42:43] op_sel:[0,0,1] op_sel_hi:[0,1,0]
	v_pk_mul_f32 v[46:47], v[44:45], v[74:75] op_sel:[0,1]
	v_pk_add_f32 v[56:57], v[56:57], v[0:1]
	v_pk_add_f32 v[28:29], v[54:55], v[84:85] neg_lo:[0,1] neg_hi:[0,1]
	v_pk_add_f32 v[24:25], v[54:55], v[84:85]
	v_mov_b32_e32 v61, v27
	v_mov_b32_e32 v53, v43
	v_pk_mul_f32 v[42:43], v[34:35], v[70:71] op_sel:[0,1]
	v_pk_fma_f32 v[64:65], v[74:75], v[44:45], v[46:47] op_sel:[0,0,1] op_sel_hi:[1,1,0] neg_lo:[0,0,1] neg_hi:[0,0,1]
	v_pk_fma_f32 v[44:45], v[74:75], v[44:45], v[46:47] op_sel:[0,0,1] op_sel_hi:[0,1,0]
	v_pk_add_f32 v[54:55], v[56:57], v[54:55]
	v_mov_b32_e32 v59, v31
	v_pk_fma_f32 v[62:63], v[70:71], v[34:35], v[42:43] op_sel:[0,0,1] op_sel_hi:[1,1,0] neg_lo:[0,0,1] neg_hi:[0,0,1]
	v_pk_fma_f32 v[34:35], v[70:71], v[34:35], v[42:43] op_sel:[0,0,1] op_sel_hi:[0,1,0]
	v_mov_b32_e32 v65, v45
	v_pk_mul_f32 v[44:45], v[36:37], v[72:73] op_sel:[0,1]
	v_pk_add_f32 v[54:55], v[54:55], v[60:61]
	v_mov_b32_e32 v63, v35
	v_pk_fma_f32 v[66:67], v[72:73], v[36:37], v[44:45] op_sel:[0,0,1] op_sel_hi:[1,1,0] neg_lo:[0,0,1] neg_hi:[0,0,1]
	v_pk_fma_f32 v[36:37], v[72:73], v[36:37], v[44:45] op_sel:[0,0,1] op_sel_hi:[0,1,0]
	v_pk_add_f32 v[54:55], v[54:55], v[58:59]
	v_mov_b32_e32 v67, v37
	v_pk_add_f32 v[54:55], v[54:55], v[62:63]
	s_mov_b32 s4, 0x3f62ad3f
	v_pk_mul_f32 v[46:47], v[22:23], s[0:1] op_sel:[1,0] op_sel_hi:[0,0]
	s_mov_b32 s18, 0xbf52af12
	v_pk_add_f32 v[54:55], v[54:55], v[66:67]
	s_mov_b32 s2, 0x3f116cb1
	v_pk_mul_f32 v[68:69], v[28:29], s[18:19] op_sel:[1,0] op_sel_hi:[0,0]
	v_pk_fma_f32 v[88:89], v[20:21], s[4:5], v[46:47] op_sel_hi:[1,0,1]
	v_pk_fma_f32 v[90:91], v[20:21], s[4:5], v[46:47] op_sel_hi:[1,0,1] neg_lo:[0,0,1] neg_hi:[0,0,1]
	v_pk_add_f32 v[54:55], v[54:55], v[64:65]
	v_pk_add_f32 v[32:33], v[60:61], v[86:87] neg_lo:[0,1] neg_hi:[0,1]
	v_pk_add_f32 v[42:43], v[62:63], v[52:53] neg_lo:[0,1] neg_hi:[0,1]
	v_pk_add_f32 v[34:35], v[62:63], v[52:53]
	s_mov_b32 s24, 0xbf7e222b
	v_mov_b32_e32 v46, v88
	v_mov_b32_e32 v47, v91
	v_pk_fma_f32 v[92:93], v[24:25], s[2:3], v[68:69] op_sel_hi:[1,0,1]
	v_pk_fma_f32 v[68:69], v[24:25], s[2:3], v[68:69] op_sel_hi:[1,0,1] neg_lo:[0,0,1] neg_hi:[0,0,1]
	v_pk_add_f32 v[52:53], v[52:53], v[54:55]
	v_pk_add_f32 v[26:27], v[60:61], v[86:87]
	v_pk_add_f32 v[38:39], v[58:59], v[50:51] neg_lo:[0,1] neg_hi:[0,1]
	v_pk_add_f32 v[30:31], v[58:59], v[50:51]
	s_mov_b32 s0, 0x3df6dbef
	v_pk_mul_f32 v[70:71], v[32:33], s[24:25] op_sel:[1,0] op_sel_hi:[0,0]
	v_pk_add_f32 v[46:47], v[46:47], v[0:1]
	v_mov_b32_e32 v94, v92
	v_mov_b32_e32 v95, v69
	v_pk_add_f32 v[50:51], v[50:51], v[52:53]
	s_mov_b32 s10, 0xbf6f5d39
	v_pk_add_f32 v[46:47], v[46:47], v[94:95]
	v_pk_fma_f32 v[94:95], v[26:27], s[0:1], v[70:71] op_sel_hi:[1,0,1]
	v_pk_fma_f32 v[70:71], v[26:27], s[0:1], v[70:71] op_sel_hi:[1,0,1] neg_lo:[0,0,1] neg_hi:[0,0,1]
	v_pk_add_f32 v[50:51], v[86:87], v[50:51]
	s_mov_b32 s6, 0xbeb58ec6
	v_pk_mul_f32 v[72:73], v[38:39], s[10:11] op_sel:[1,0] op_sel_hi:[0,0]
	v_mov_b32_e32 v96, v94
	v_mov_b32_e32 v97, v71
	v_pk_add_f32 v[50:51], v[84:85], v[50:51]
	s_mov_b32 s14, 0xbf29c268
	v_pk_add_f32 v[46:47], v[46:47], v[96:97]
	v_pk_fma_f32 v[96:97], v[30:31], s[6:7], v[72:73] op_sel_hi:[1,0,1]
	v_pk_fma_f32 v[72:73], v[30:31], s[6:7], v[72:73] op_sel_hi:[1,0,1] neg_lo:[0,0,1] neg_hi:[0,0,1]
	v_pk_add_f32 v[50:51], v[82:83], v[50:51]
	v_mov_b32_e32 v91, v89
	s_mov_b32 s8, 0xbf3f9e67
	v_pk_mul_f32 v[74:75], v[42:43], s[14:15] op_sel:[1,0] op_sel_hi:[0,0]
	v_mov_b32_e32 v98, v96
	v_mov_b32_e32 v99, v73
	global_store_dwordx2 v[78:79], v[50:51], off
	v_pk_add_f32 v[50:51], v[90:91], v[0:1]
	v_mov_b32_e32 v69, v93
	v_pk_add_f32 v[44:45], v[66:67], v[64:65] neg_lo:[0,1] neg_hi:[0,1]
	s_mov_b32 s16, 0xbe750f2a
	v_pk_add_f32 v[46:47], v[46:47], v[98:99]
	v_pk_fma_f32 v[98:99], v[34:35], s[8:9], v[74:75] op_sel_hi:[1,0,1]
	v_pk_fma_f32 v[74:75], v[34:35], s[8:9], v[74:75] op_sel_hi:[1,0,1] neg_lo:[0,0,1] neg_hi:[0,0,1]
	v_pk_add_f32 v[50:51], v[50:51], v[68:69]
	v_mov_b32_e32 v71, v95
	v_pk_add_f32 v[36:37], v[66:67], v[64:65]
	s_mov_b32 s12, 0xbf788fa5
	v_pk_mul_f32 v[76:77], v[44:45], s[16:17] op_sel:[1,0] op_sel_hi:[0,0]
	v_mov_b32_e32 v100, v98
	v_mov_b32_e32 v101, v75
	v_pk_add_f32 v[50:51], v[50:51], v[70:71]
	v_mov_b32_e32 v73, v97
	v_pk_add_f32 v[46:47], v[46:47], v[100:101]
	v_pk_fma_f32 v[100:101], v[36:37], s[12:13], v[76:77] op_sel_hi:[1,0,1]
	v_pk_fma_f32 v[76:77], v[36:37], s[12:13], v[76:77] op_sel_hi:[1,0,1] neg_lo:[0,0,1] neg_hi:[0,0,1]
	v_pk_add_f32 v[50:51], v[50:51], v[72:73]
	v_mov_b32_e32 v75, v99
	v_mov_b32_e32 v103, v77
	v_pk_add_f32 v[50:51], v[50:51], v[74:75]
	v_mov_b32_e32 v77, v101
	v_pk_add_f32 v[50:51], v[50:51], v[76:77]
	global_store_dwordx2 v[80:81], v[50:51], off
	v_pk_mul_f32 v[50:51], v[22:23], s[18:19] op_sel:[1,0] op_sel_hi:[0,0]
	v_pk_mul_f32 v[52:53], v[28:29], s[10:11] op_sel:[1,0] op_sel_hi:[0,0]
	v_pk_fma_f32 v[62:63], v[20:21], s[2:3], v[50:51] op_sel_hi:[1,0,1]
	v_pk_fma_f32 v[50:51], v[20:21], s[2:3], v[50:51] op_sel_hi:[1,0,1] neg_lo:[0,0,1] neg_hi:[0,0,1]
	v_mov_b32_e32 v64, v62
	v_mov_b32_e32 v65, v51
	v_pk_fma_f32 v[66:67], v[24:25], s[6:7], v[52:53] op_sel_hi:[1,0,1]
	v_pk_fma_f32 v[52:53], v[24:25], s[6:7], v[52:53] op_sel_hi:[1,0,1] neg_lo:[0,0,1] neg_hi:[0,0,1]
	v_pk_mul_f32 v[54:55], v[32:33], s[16:17] op_sel:[1,0] op_sel_hi:[0,0]
	v_pk_add_f32 v[64:65], v[64:65], v[0:1]
	v_mov_b32_e32 v68, v66
	v_mov_b32_e32 v69, v53
	s_mov_b32 s26, 0x3f29c268
	v_pk_add_f32 v[64:65], v[64:65], v[68:69]
	v_pk_fma_f32 v[68:69], v[26:27], s[12:13], v[54:55] op_sel_hi:[1,0,1]
	v_pk_fma_f32 v[54:55], v[26:27], s[12:13], v[54:55] op_sel_hi:[1,0,1] neg_lo:[0,0,1] neg_hi:[0,0,1]
	v_pk_mul_f32 v[56:57], v[38:39], s[26:27] op_sel:[1,0] op_sel_hi:[0,0]
	v_mov_b32_e32 v70, v68
	v_mov_b32_e32 v71, v55
	s_mov_b32 s20, 0x3f7e222b
	v_pk_add_f32 v[64:65], v[64:65], v[70:71]
	v_pk_fma_f32 v[70:71], v[30:31], s[8:9], v[56:57] op_sel_hi:[1,0,1]
	v_pk_fma_f32 v[56:57], v[30:31], s[8:9], v[56:57] op_sel_hi:[1,0,1] neg_lo:[0,0,1] neg_hi:[0,0,1]
	v_mov_b32_e32 v51, v63
	v_pk_mul_f32 v[58:59], v[42:43], s[20:21] op_sel:[1,0] op_sel_hi:[0,0]
	v_mov_b32_e32 v72, v70
	v_mov_b32_e32 v73, v57
	v_pk_add_f32 v[50:51], v[50:51], v[0:1]
	v_mov_b32_e32 v53, v67
	s_mov_b32 s22, 0x3eedf032
	v_pk_add_f32 v[64:65], v[64:65], v[72:73]
	v_pk_fma_f32 v[72:73], v[34:35], s[0:1], v[58:59] op_sel_hi:[1,0,1]
	v_pk_fma_f32 v[58:59], v[34:35], s[0:1], v[58:59] op_sel_hi:[1,0,1] neg_lo:[0,0,1] neg_hi:[0,0,1]
	v_pk_add_f32 v[50:51], v[50:51], v[52:53]
	v_mov_b32_e32 v55, v69
	v_pk_mul_f32 v[60:61], v[44:45], s[22:23] op_sel:[1,0] op_sel_hi:[0,0]
	v_mov_b32_e32 v74, v72
	v_mov_b32_e32 v75, v59
	v_pk_add_f32 v[50:51], v[50:51], v[54:55]
	v_mov_b32_e32 v57, v71
	v_pk_add_f32 v[64:65], v[64:65], v[74:75]
	v_pk_fma_f32 v[74:75], v[36:37], s[4:5], v[60:61] op_sel_hi:[1,0,1]
	v_pk_fma_f32 v[60:61], v[36:37], s[4:5], v[60:61] op_sel_hi:[1,0,1] neg_lo:[0,0,1] neg_hi:[0,0,1]
	v_pk_add_f32 v[50:51], v[50:51], v[56:57]
	v_mov_b32_e32 v59, v73
	v_mov_b32_e32 v77, v61
	v_pk_add_f32 v[50:51], v[50:51], v[58:59]
	v_mov_b32_e32 v61, v75
	v_pk_add_f32 v[50:51], v[50:51], v[60:61]
	global_store_dwordx2 v[48:49], v[50:51], off
	v_pk_mul_f32 v[48:49], v[22:23], s[24:25] op_sel:[1,0] op_sel_hi:[0,0]
	v_pk_mul_f32 v[50:51], v[28:29], s[16:17] op_sel:[1,0] op_sel_hi:[0,0]
	v_pk_fma_f32 v[60:61], v[20:21], s[0:1], v[48:49] op_sel_hi:[1,0,1]
	v_pk_fma_f32 v[48:49], v[20:21], s[0:1], v[48:49] op_sel_hi:[1,0,1] neg_lo:[0,0,1] neg_hi:[0,0,1]
	s_mov_b32 s28, 0x3f6f5d39
	v_mov_b32_e32 v62, v60
	v_mov_b32_e32 v63, v49
	v_pk_fma_f32 v[66:67], v[24:25], s[12:13], v[50:51] op_sel_hi:[1,0,1]
	v_pk_fma_f32 v[50:51], v[24:25], s[12:13], v[50:51] op_sel_hi:[1,0,1] neg_lo:[0,0,1] neg_hi:[0,0,1]
	v_pk_mul_f32 v[52:53], v[32:33], s[28:29] op_sel:[1,0] op_sel_hi:[0,0]
	v_pk_add_f32 v[62:63], v[62:63], v[0:1]
	v_mov_b32_e32 v68, v66
	v_mov_b32_e32 v69, v51
	v_pk_add_f32 v[62:63], v[62:63], v[68:69]
	v_pk_fma_f32 v[68:69], v[26:27], s[6:7], v[52:53] op_sel_hi:[1,0,1]
	v_pk_fma_f32 v[52:53], v[26:27], s[6:7], v[52:53] op_sel_hi:[1,0,1] neg_lo:[0,0,1] neg_hi:[0,0,1]
	v_pk_mul_f32 v[54:55], v[38:39], s[22:23] op_sel:[1,0] op_sel_hi:[0,0]
	v_mov_b32_e32 v70, v68
	v_mov_b32_e32 v71, v53
	v_pk_add_f32 v[62:63], v[62:63], v[70:71]
	v_pk_fma_f32 v[70:71], v[30:31], s[4:5], v[54:55] op_sel_hi:[1,0,1]
	v_pk_fma_f32 v[54:55], v[30:31], s[4:5], v[54:55] op_sel_hi:[1,0,1] neg_lo:[0,0,1] neg_hi:[0,0,1]
	v_mov_b32_e32 v49, v61
	v_pk_mul_f32 v[56:57], v[42:43], s[18:19] op_sel:[1,0] op_sel_hi:[0,0]
	v_mov_b32_e32 v72, v70
	v_mov_b32_e32 v73, v55
	v_pk_add_f32 v[48:49], v[48:49], v[0:1]
	v_mov_b32_e32 v51, v67
	v_pk_add_f32 v[62:63], v[62:63], v[72:73]
	v_pk_fma_f32 v[72:73], v[34:35], s[2:3], v[56:57] op_sel_hi:[1,0,1]
	v_pk_fma_f32 v[56:57], v[34:35], s[2:3], v[56:57] op_sel_hi:[1,0,1] neg_lo:[0,0,1] neg_hi:[0,0,1]
	v_pk_add_f32 v[48:49], v[48:49], v[50:51]
	v_mov_b32_e32 v53, v69
	v_mov_b32_e32 v76, v74
	v_pk_mul_f32 v[58:59], v[44:45], s[14:15] op_sel:[1,0] op_sel_hi:[0,0]
	v_mov_b32_e32 v74, v72
	v_mov_b32_e32 v75, v57
	v_pk_add_f32 v[48:49], v[48:49], v[52:53]
	v_mov_b32_e32 v55, v71
	v_pk_add_f32 v[62:63], v[62:63], v[74:75]
	v_pk_fma_f32 v[74:75], v[36:37], s[8:9], v[58:59] op_sel_hi:[1,0,1]
	v_pk_fma_f32 v[58:59], v[36:37], s[8:9], v[58:59] op_sel_hi:[1,0,1] neg_lo:[0,0,1] neg_hi:[0,0,1]
	v_pk_add_f32 v[48:49], v[48:49], v[54:55]
	v_mov_b32_e32 v57, v73
	v_pk_add_f32 v[64:65], v[64:65], v[76:77]
	v_mov_b32_e32 v77, v59
	v_pk_add_f32 v[48:49], v[48:49], v[56:57]
	v_mov_b32_e32 v59, v75
	v_pk_add_f32 v[48:49], v[48:49], v[58:59]
	global_store_dwordx2 v[40:41], v[48:49], off
	v_pk_mul_f32 v[40:41], v[22:23], s[10:11] op_sel:[1,0] op_sel_hi:[0,0]
	v_pk_mul_f32 v[48:49], v[28:29], s[26:27] op_sel:[1,0] op_sel_hi:[0,0]
	v_pk_fma_f32 v[58:59], v[20:21], s[6:7], v[40:41] op_sel_hi:[1,0,1]
	v_pk_fma_f32 v[40:41], v[20:21], s[6:7], v[40:41] op_sel_hi:[1,0,1] neg_lo:[0,0,1] neg_hi:[0,0,1]
	v_mov_b32_e32 v60, v58
	v_mov_b32_e32 v61, v41
	v_pk_fma_f32 v[66:67], v[24:25], s[8:9], v[48:49] op_sel_hi:[1,0,1]
	v_pk_fma_f32 v[48:49], v[24:25], s[8:9], v[48:49] op_sel_hi:[1,0,1] neg_lo:[0,0,1] neg_hi:[0,0,1]
	v_pk_mul_f32 v[50:51], v[32:33], s[22:23] op_sel:[1,0] op_sel_hi:[0,0]
	v_pk_add_f32 v[60:61], v[60:61], v[0:1]
	v_mov_b32_e32 v68, v66
	v_mov_b32_e32 v69, v49
	v_pk_add_f32 v[60:61], v[60:61], v[68:69]
	v_pk_fma_f32 v[68:69], v[26:27], s[4:5], v[50:51] op_sel_hi:[1,0,1]
	v_pk_fma_f32 v[50:51], v[26:27], s[4:5], v[50:51] op_sel_hi:[1,0,1] neg_lo:[0,0,1] neg_hi:[0,0,1]
	v_pk_mul_f32 v[52:53], v[38:39], s[24:25] op_sel:[1,0] op_sel_hi:[0,0]
	v_mov_b32_e32 v70, v68
	v_mov_b32_e32 v71, v51
	s_mov_b32 s26, 0x3e750f2a
	v_pk_add_f32 v[60:61], v[60:61], v[70:71]
	v_pk_fma_f32 v[70:71], v[30:31], s[0:1], v[52:53] op_sel_hi:[1,0,1]
	v_pk_fma_f32 v[52:53], v[30:31], s[0:1], v[52:53] op_sel_hi:[1,0,1] neg_lo:[0,0,1] neg_hi:[0,0,1]
	v_mov_b32_e32 v41, v59
	v_pk_mul_f32 v[54:55], v[42:43], s[26:27] op_sel:[1,0] op_sel_hi:[0,0]
	v_mov_b32_e32 v72, v70
	v_mov_b32_e32 v73, v53
	v_pk_add_f32 v[40:41], v[40:41], v[0:1]
	v_mov_b32_e32 v49, v67
	s_mov_b32 s24, 0x3f52af12
	v_pk_add_f32 v[60:61], v[60:61], v[72:73]
	v_pk_fma_f32 v[72:73], v[34:35], s[12:13], v[54:55] op_sel_hi:[1,0,1]
	v_pk_fma_f32 v[54:55], v[34:35], s[12:13], v[54:55] op_sel_hi:[1,0,1] neg_lo:[0,0,1] neg_hi:[0,0,1]
	v_pk_add_f32 v[40:41], v[40:41], v[48:49]
	v_mov_b32_e32 v51, v69
	v_mov_b32_e32 v76, v74
	v_pk_mul_f32 v[56:57], v[44:45], s[24:25] op_sel:[1,0] op_sel_hi:[0,0]
	v_mov_b32_e32 v74, v72
	v_mov_b32_e32 v75, v55
	v_pk_add_f32 v[40:41], v[40:41], v[50:51]
	v_mov_b32_e32 v53, v71
	v_pk_add_f32 v[60:61], v[60:61], v[74:75]
	v_pk_fma_f32 v[74:75], v[36:37], s[2:3], v[56:57] op_sel_hi:[1,0,1]
	v_pk_fma_f32 v[56:57], v[36:37], s[2:3], v[56:57] op_sel_hi:[1,0,1] neg_lo:[0,0,1] neg_hi:[0,0,1]
	v_pk_add_f32 v[40:41], v[40:41], v[52:53]
	v_mov_b32_e32 v55, v73
	v_pk_add_f32 v[62:63], v[62:63], v[76:77]
	v_mov_b32_e32 v77, v57
	v_pk_add_f32 v[40:41], v[40:41], v[54:55]
	v_mov_b32_e32 v57, v75
	v_pk_add_f32 v[40:41], v[40:41], v[56:57]
	global_store_dwordx2 v[18:19], v[40:41], off
	v_pk_mul_f32 v[18:19], v[22:23], s[14:15] op_sel:[1,0] op_sel_hi:[0,0]
	v_pk_mul_f32 v[40:41], v[28:29], s[20:21] op_sel:[1,0] op_sel_hi:[0,0]
	v_pk_fma_f32 v[56:57], v[20:21], s[8:9], v[18:19] op_sel_hi:[1,0,1]
	v_pk_fma_f32 v[18:19], v[20:21], s[8:9], v[18:19] op_sel_hi:[1,0,1] neg_lo:[0,0,1] neg_hi:[0,0,1]
	v_mov_b32_e32 v58, v56
	v_mov_b32_e32 v59, v19
	v_pk_fma_f32 v[66:67], v[24:25], s[0:1], v[40:41] op_sel_hi:[1,0,1]
	v_pk_fma_f32 v[40:41], v[24:25], s[0:1], v[40:41] op_sel_hi:[1,0,1] neg_lo:[0,0,1] neg_hi:[0,0,1]
	v_pk_mul_f32 v[48:49], v[32:33], s[18:19] op_sel:[1,0] op_sel_hi:[0,0]
	v_pk_add_f32 v[58:59], v[58:59], v[0:1]
	v_mov_b32_e32 v68, v66
	v_mov_b32_e32 v69, v41
	v_pk_add_f32 v[58:59], v[58:59], v[68:69]
	v_pk_fma_f32 v[68:69], v[26:27], s[2:3], v[48:49] op_sel_hi:[1,0,1]
	v_pk_fma_f32 v[48:49], v[26:27], s[2:3], v[48:49] op_sel_hi:[1,0,1] neg_lo:[0,0,1] neg_hi:[0,0,1]
	v_pk_mul_f32 v[50:51], v[38:39], s[26:27] op_sel:[1,0] op_sel_hi:[0,0]
	v_mov_b32_e32 v70, v68
	v_mov_b32_e32 v71, v49
	v_pk_add_f32 v[58:59], v[58:59], v[70:71]
	v_pk_fma_f32 v[70:71], v[30:31], s[12:13], v[50:51] op_sel_hi:[1,0,1]
	v_pk_fma_f32 v[50:51], v[30:31], s[12:13], v[50:51] op_sel_hi:[1,0,1] neg_lo:[0,0,1] neg_hi:[0,0,1]
	v_mov_b32_e32 v19, v57
	v_pk_mul_f32 v[52:53], v[42:43], s[22:23] op_sel:[1,0] op_sel_hi:[0,0]
	v_mov_b32_e32 v72, v70
	v_mov_b32_e32 v73, v51
	v_pk_add_f32 v[18:19], v[18:19], v[0:1]
	v_mov_b32_e32 v41, v67
	v_pk_add_f32 v[58:59], v[58:59], v[72:73]
	v_pk_fma_f32 v[72:73], v[34:35], s[4:5], v[52:53] op_sel_hi:[1,0,1]
	v_pk_fma_f32 v[52:53], v[34:35], s[4:5], v[52:53] op_sel_hi:[1,0,1] neg_lo:[0,0,1] neg_hi:[0,0,1]
	v_pk_add_f32 v[18:19], v[18:19], v[40:41]
	v_mov_b32_e32 v49, v69
	v_mov_b32_e32 v76, v74
	v_pk_mul_f32 v[54:55], v[44:45], s[10:11] op_sel:[1,0] op_sel_hi:[0,0]
	v_mov_b32_e32 v74, v72
	v_mov_b32_e32 v75, v53
	v_pk_add_f32 v[18:19], v[18:19], v[48:49]
	v_mov_b32_e32 v51, v71
	v_pk_add_f32 v[58:59], v[58:59], v[74:75]
	v_pk_fma_f32 v[74:75], v[36:37], s[6:7], v[54:55] op_sel_hi:[1,0,1]
	v_pk_fma_f32 v[54:55], v[36:37], s[6:7], v[54:55] op_sel_hi:[1,0,1] neg_lo:[0,0,1] neg_hi:[0,0,1]
	v_pk_add_f32 v[18:19], v[18:19], v[50:51]
	v_mov_b32_e32 v53, v73
	v_pk_add_f32 v[60:61], v[60:61], v[76:77]
	v_mov_b32_e32 v77, v55
	;; [unrolled: 2-line block ×3, first 2 shown]
	v_pk_add_f32 v[18:19], v[18:19], v[54:55]
	global_store_dwordx2 v[16:17], v[18:19], off
	v_pk_mul_f32 v[16:17], v[22:23], s[16:17] op_sel:[1,0] op_sel_hi:[0,0]
	v_pk_mul_f32 v[18:19], v[28:29], s[22:23] op_sel:[1,0] op_sel_hi:[0,0]
	v_pk_fma_f32 v[40:41], v[20:21], s[12:13], v[16:17] op_sel_hi:[1,0,1]
	v_pk_fma_f32 v[16:17], v[20:21], s[12:13], v[16:17] op_sel_hi:[1,0,1] neg_lo:[0,0,1] neg_hi:[0,0,1]
	v_pk_mul_f32 v[22:23], v[32:33], s[14:15] op_sel:[1,0] op_sel_hi:[0,0]
	v_pk_mul_f32 v[32:33], v[42:43], s[10:11] op_sel:[1,0] op_sel_hi:[0,0]
	v_mov_b32_e32 v20, v40
	v_mov_b32_e32 v21, v17
	v_pk_fma_f32 v[42:43], v[24:25], s[4:5], v[18:19] op_sel_hi:[1,0,1]
	v_pk_fma_f32 v[18:19], v[24:25], s[4:5], v[18:19] op_sel_hi:[1,0,1] neg_lo:[0,0,1] neg_hi:[0,0,1]
	v_pk_add_f32 v[20:21], v[20:21], v[0:1]
	v_mov_b32_e32 v24, v42
	v_mov_b32_e32 v25, v19
	v_pk_add_f32 v[20:21], v[20:21], v[24:25]
	v_pk_fma_f32 v[24:25], v[26:27], s[8:9], v[22:23] op_sel_hi:[1,0,1]
	v_pk_fma_f32 v[22:23], v[26:27], s[8:9], v[22:23] op_sel_hi:[1,0,1] neg_lo:[0,0,1] neg_hi:[0,0,1]
	v_pk_mul_f32 v[28:29], v[38:39], s[24:25] op_sel:[1,0] op_sel_hi:[0,0]
	v_mov_b32_e32 v26, v24
	v_mov_b32_e32 v27, v23
	v_pk_add_f32 v[20:21], v[20:21], v[26:27]
	v_pk_fma_f32 v[26:27], v[30:31], s[2:3], v[28:29] op_sel_hi:[1,0,1]
	v_pk_fma_f32 v[28:29], v[30:31], s[2:3], v[28:29] op_sel_hi:[1,0,1] neg_lo:[0,0,1] neg_hi:[0,0,1]
	v_mov_b32_e32 v17, v41
	v_mov_b32_e32 v30, v26
	;; [unrolled: 1-line block ×3, first 2 shown]
	v_pk_add_f32 v[0:1], v[16:17], v[0:1]
	v_mov_b32_e32 v19, v43
	v_pk_add_f32 v[20:21], v[20:21], v[30:31]
	v_pk_fma_f32 v[30:31], v[34:35], s[6:7], v[32:33] op_sel_hi:[1,0,1]
	v_pk_fma_f32 v[32:33], v[34:35], s[6:7], v[32:33] op_sel_hi:[1,0,1] neg_lo:[0,0,1] neg_hi:[0,0,1]
	v_pk_add_f32 v[0:1], v[0:1], v[18:19]
	v_mov_b32_e32 v23, v25
	v_pk_mul_f32 v[38:39], v[44:45], s[20:21] op_sel:[1,0] op_sel_hi:[0,0]
	v_mov_b32_e32 v34, v30
	v_mov_b32_e32 v35, v33
	v_pk_add_f32 v[0:1], v[0:1], v[22:23]
	v_mov_b32_e32 v29, v27
	v_pk_add_f32 v[20:21], v[20:21], v[34:35]
	v_pk_fma_f32 v[34:35], v[36:37], s[0:1], v[38:39] op_sel_hi:[1,0,1]
	v_pk_fma_f32 v[36:37], v[36:37], s[0:1], v[38:39] op_sel_hi:[1,0,1] neg_lo:[0,0,1] neg_hi:[0,0,1]
	v_pk_add_f32 v[0:1], v[0:1], v[28:29]
	v_mov_b32_e32 v33, v31
	v_mov_b32_e32 v39, v37
	v_pk_add_f32 v[0:1], v[0:1], v[32:33]
	v_mov_b32_e32 v37, v35
	v_mov_b32_e32 v102, v100
	;; [unrolled: 1-line block ×4, first 2 shown]
	v_pk_add_f32 v[0:1], v[0:1], v[36:37]
	v_pk_add_f32 v[46:47], v[46:47], v[102:103]
	;; [unrolled: 1-line block ×4, first 2 shown]
	global_store_dwordx2 v[2:3], v[0:1], off
	global_store_dwordx2 v[4:5], v[20:21], off
	;; [unrolled: 1-line block ×7, first 2 shown]
.LBB0_19:
	s_endpgm
	.section	.rodata,"a",@progbits
	.p2align	6, 0x0
	.amdhsa_kernel fft_rtc_fwd_len1014_factors_13_6_13_wgs_156_tpt_78_sp_ip_CI_sbrr_dirReg
		.amdhsa_group_segment_fixed_size 0
		.amdhsa_private_segment_fixed_size 0
		.amdhsa_kernarg_size 88
		.amdhsa_user_sgpr_count 2
		.amdhsa_user_sgpr_dispatch_ptr 0
		.amdhsa_user_sgpr_queue_ptr 0
		.amdhsa_user_sgpr_kernarg_segment_ptr 1
		.amdhsa_user_sgpr_dispatch_id 0
		.amdhsa_user_sgpr_kernarg_preload_length 0
		.amdhsa_user_sgpr_kernarg_preload_offset 0
		.amdhsa_user_sgpr_private_segment_size 0
		.amdhsa_uses_dynamic_stack 0
		.amdhsa_enable_private_segment 0
		.amdhsa_system_sgpr_workgroup_id_x 1
		.amdhsa_system_sgpr_workgroup_id_y 0
		.amdhsa_system_sgpr_workgroup_id_z 0
		.amdhsa_system_sgpr_workgroup_info 0
		.amdhsa_system_vgpr_workitem_id 0
		.amdhsa_next_free_vgpr 154
		.amdhsa_next_free_sgpr 44
		.amdhsa_accum_offset 156
		.amdhsa_reserve_vcc 1
		.amdhsa_float_round_mode_32 0
		.amdhsa_float_round_mode_16_64 0
		.amdhsa_float_denorm_mode_32 3
		.amdhsa_float_denorm_mode_16_64 3
		.amdhsa_dx10_clamp 1
		.amdhsa_ieee_mode 1
		.amdhsa_fp16_overflow 0
		.amdhsa_tg_split 0
		.amdhsa_exception_fp_ieee_invalid_op 0
		.amdhsa_exception_fp_denorm_src 0
		.amdhsa_exception_fp_ieee_div_zero 0
		.amdhsa_exception_fp_ieee_overflow 0
		.amdhsa_exception_fp_ieee_underflow 0
		.amdhsa_exception_fp_ieee_inexact 0
		.amdhsa_exception_int_div_zero 0
	.end_amdhsa_kernel
	.text
.Lfunc_end0:
	.size	fft_rtc_fwd_len1014_factors_13_6_13_wgs_156_tpt_78_sp_ip_CI_sbrr_dirReg, .Lfunc_end0-fft_rtc_fwd_len1014_factors_13_6_13_wgs_156_tpt_78_sp_ip_CI_sbrr_dirReg
                                        ; -- End function
	.section	.AMDGPU.csdata,"",@progbits
; Kernel info:
; codeLenInByte = 9564
; NumSgprs: 50
; NumVgprs: 154
; NumAgprs: 0
; TotalNumVgprs: 154
; ScratchSize: 0
; MemoryBound: 0
; FloatMode: 240
; IeeeMode: 1
; LDSByteSize: 0 bytes/workgroup (compile time only)
; SGPRBlocks: 6
; VGPRBlocks: 19
; NumSGPRsForWavesPerEU: 50
; NumVGPRsForWavesPerEU: 154
; AccumOffset: 156
; Occupancy: 3
; WaveLimiterHint : 1
; COMPUTE_PGM_RSRC2:SCRATCH_EN: 0
; COMPUTE_PGM_RSRC2:USER_SGPR: 2
; COMPUTE_PGM_RSRC2:TRAP_HANDLER: 0
; COMPUTE_PGM_RSRC2:TGID_X_EN: 1
; COMPUTE_PGM_RSRC2:TGID_Y_EN: 0
; COMPUTE_PGM_RSRC2:TGID_Z_EN: 0
; COMPUTE_PGM_RSRC2:TIDIG_COMP_CNT: 0
; COMPUTE_PGM_RSRC3_GFX90A:ACCUM_OFFSET: 38
; COMPUTE_PGM_RSRC3_GFX90A:TG_SPLIT: 0
	.text
	.p2alignl 6, 3212836864
	.fill 256, 4, 3212836864
	.type	__hip_cuid_5d4eb3c16d246203,@object ; @__hip_cuid_5d4eb3c16d246203
	.section	.bss,"aw",@nobits
	.globl	__hip_cuid_5d4eb3c16d246203
__hip_cuid_5d4eb3c16d246203:
	.byte	0                               ; 0x0
	.size	__hip_cuid_5d4eb3c16d246203, 1

	.ident	"AMD clang version 19.0.0git (https://github.com/RadeonOpenCompute/llvm-project roc-6.4.0 25133 c7fe45cf4b819c5991fe208aaa96edf142730f1d)"
	.section	".note.GNU-stack","",@progbits
	.addrsig
	.addrsig_sym __hip_cuid_5d4eb3c16d246203
	.amdgpu_metadata
---
amdhsa.kernels:
  - .agpr_count:     0
    .args:
      - .actual_access:  read_only
        .address_space:  global
        .offset:         0
        .size:           8
        .value_kind:     global_buffer
      - .offset:         8
        .size:           8
        .value_kind:     by_value
      - .actual_access:  read_only
        .address_space:  global
        .offset:         16
        .size:           8
        .value_kind:     global_buffer
      - .actual_access:  read_only
        .address_space:  global
        .offset:         24
        .size:           8
        .value_kind:     global_buffer
      - .offset:         32
        .size:           8
        .value_kind:     by_value
      - .actual_access:  read_only
        .address_space:  global
        .offset:         40
        .size:           8
        .value_kind:     global_buffer
      - .actual_access:  read_only
        .address_space:  global
        .offset:         48
        .size:           8
        .value_kind:     global_buffer
      - .offset:         56
        .size:           4
        .value_kind:     by_value
      - .actual_access:  read_only
        .address_space:  global
        .offset:         64
        .size:           8
        .value_kind:     global_buffer
      - .actual_access:  read_only
        .address_space:  global
        .offset:         72
        .size:           8
        .value_kind:     global_buffer
      - .address_space:  global
        .offset:         80
        .size:           8
        .value_kind:     global_buffer
    .group_segment_fixed_size: 0
    .kernarg_segment_align: 8
    .kernarg_segment_size: 88
    .language:       OpenCL C
    .language_version:
      - 2
      - 0
    .max_flat_workgroup_size: 156
    .name:           fft_rtc_fwd_len1014_factors_13_6_13_wgs_156_tpt_78_sp_ip_CI_sbrr_dirReg
    .private_segment_fixed_size: 0
    .sgpr_count:     50
    .sgpr_spill_count: 0
    .symbol:         fft_rtc_fwd_len1014_factors_13_6_13_wgs_156_tpt_78_sp_ip_CI_sbrr_dirReg.kd
    .uniform_work_group_size: 1
    .uses_dynamic_stack: false
    .vgpr_count:     154
    .vgpr_spill_count: 0
    .wavefront_size: 64
amdhsa.target:   amdgcn-amd-amdhsa--gfx950
amdhsa.version:
  - 1
  - 2
...

	.end_amdgpu_metadata
